;; amdgpu-corpus repo=ROCm/rocFFT kind=compiled arch=gfx906 opt=O3
	.text
	.amdgcn_target "amdgcn-amd-amdhsa--gfx906"
	.amdhsa_code_object_version 6
	.protected	fft_rtc_back_len2023_factors_17_7_17_wgs_119_tpt_119_halfLds_dp_ip_CI_unitstride_sbrr_dirReg ; -- Begin function fft_rtc_back_len2023_factors_17_7_17_wgs_119_tpt_119_halfLds_dp_ip_CI_unitstride_sbrr_dirReg
	.globl	fft_rtc_back_len2023_factors_17_7_17_wgs_119_tpt_119_halfLds_dp_ip_CI_unitstride_sbrr_dirReg
	.p2align	8
	.type	fft_rtc_back_len2023_factors_17_7_17_wgs_119_tpt_119_halfLds_dp_ip_CI_unitstride_sbrr_dirReg,@function
fft_rtc_back_len2023_factors_17_7_17_wgs_119_tpt_119_halfLds_dp_ip_CI_unitstride_sbrr_dirReg: ; @fft_rtc_back_len2023_factors_17_7_17_wgs_119_tpt_119_halfLds_dp_ip_CI_unitstride_sbrr_dirReg
; %bb.0:
	s_load_dwordx2 s[2:3], s[4:5], 0x50
	s_load_dwordx4 s[8:11], s[4:5], 0x0
	s_load_dwordx2 s[12:13], s[4:5], 0x18
	v_mul_u32_u24_e32 v1, 0x227, v0
	v_add_u32_sdwa v5, s6, v1 dst_sel:DWORD dst_unused:UNUSED_PAD src0_sel:DWORD src1_sel:WORD_1
	v_mov_b32_e32 v3, 0
	s_waitcnt lgkmcnt(0)
	v_cmp_lt_u64_e64 s[0:1], s[10:11], 2
	v_mov_b32_e32 v1, 0
	v_mov_b32_e32 v6, v3
	s_and_b64 vcc, exec, s[0:1]
	v_mov_b32_e32 v2, 0
	s_cbranch_vccnz .LBB0_8
; %bb.1:
	s_load_dwordx2 s[0:1], s[4:5], 0x10
	s_add_u32 s6, s12, 8
	s_addc_u32 s7, s13, 0
	v_mov_b32_e32 v1, 0
	v_mov_b32_e32 v2, 0
	s_waitcnt lgkmcnt(0)
	s_add_u32 s14, s0, 8
	s_addc_u32 s15, s1, 0
	s_mov_b64 s[16:17], 1
.LBB0_2:                                ; =>This Inner Loop Header: Depth=1
	s_load_dwordx2 s[18:19], s[14:15], 0x0
                                        ; implicit-def: $vgpr7_vgpr8
	s_waitcnt lgkmcnt(0)
	v_or_b32_e32 v4, s19, v6
	v_cmp_ne_u64_e32 vcc, 0, v[3:4]
	s_and_saveexec_b64 s[0:1], vcc
	s_xor_b64 s[20:21], exec, s[0:1]
	s_cbranch_execz .LBB0_4
; %bb.3:                                ;   in Loop: Header=BB0_2 Depth=1
	v_cvt_f32_u32_e32 v4, s18
	v_cvt_f32_u32_e32 v7, s19
	s_sub_u32 s0, 0, s18
	s_subb_u32 s1, 0, s19
	v_mac_f32_e32 v4, 0x4f800000, v7
	v_rcp_f32_e32 v4, v4
	v_mul_f32_e32 v4, 0x5f7ffffc, v4
	v_mul_f32_e32 v7, 0x2f800000, v4
	v_trunc_f32_e32 v7, v7
	v_mac_f32_e32 v4, 0xcf800000, v7
	v_cvt_u32_f32_e32 v7, v7
	v_cvt_u32_f32_e32 v4, v4
	v_mul_lo_u32 v8, s0, v7
	v_mul_hi_u32 v9, s0, v4
	v_mul_lo_u32 v11, s1, v4
	v_mul_lo_u32 v10, s0, v4
	v_add_u32_e32 v8, v9, v8
	v_add_u32_e32 v8, v8, v11
	v_mul_hi_u32 v9, v4, v10
	v_mul_lo_u32 v11, v4, v8
	v_mul_hi_u32 v13, v4, v8
	v_mul_hi_u32 v12, v7, v10
	v_mul_lo_u32 v10, v7, v10
	v_mul_hi_u32 v14, v7, v8
	v_add_co_u32_e32 v9, vcc, v9, v11
	v_addc_co_u32_e32 v11, vcc, 0, v13, vcc
	v_mul_lo_u32 v8, v7, v8
	v_add_co_u32_e32 v9, vcc, v9, v10
	v_addc_co_u32_e32 v9, vcc, v11, v12, vcc
	v_addc_co_u32_e32 v10, vcc, 0, v14, vcc
	v_add_co_u32_e32 v8, vcc, v9, v8
	v_addc_co_u32_e32 v9, vcc, 0, v10, vcc
	v_add_co_u32_e32 v4, vcc, v4, v8
	v_addc_co_u32_e32 v7, vcc, v7, v9, vcc
	v_mul_lo_u32 v8, s0, v7
	v_mul_hi_u32 v9, s0, v4
	v_mul_lo_u32 v10, s1, v4
	v_mul_lo_u32 v11, s0, v4
	v_add_u32_e32 v8, v9, v8
	v_add_u32_e32 v8, v8, v10
	v_mul_lo_u32 v12, v4, v8
	v_mul_hi_u32 v13, v4, v11
	v_mul_hi_u32 v14, v4, v8
	;; [unrolled: 1-line block ×3, first 2 shown]
	v_mul_lo_u32 v11, v7, v11
	v_mul_hi_u32 v9, v7, v8
	v_add_co_u32_e32 v12, vcc, v13, v12
	v_addc_co_u32_e32 v13, vcc, 0, v14, vcc
	v_mul_lo_u32 v8, v7, v8
	v_add_co_u32_e32 v11, vcc, v12, v11
	v_addc_co_u32_e32 v10, vcc, v13, v10, vcc
	v_addc_co_u32_e32 v9, vcc, 0, v9, vcc
	v_add_co_u32_e32 v8, vcc, v10, v8
	v_addc_co_u32_e32 v9, vcc, 0, v9, vcc
	v_add_co_u32_e32 v4, vcc, v4, v8
	v_addc_co_u32_e32 v9, vcc, v7, v9, vcc
	v_mad_u64_u32 v[7:8], s[0:1], v5, v9, 0
	v_mul_hi_u32 v10, v5, v4
	v_add_co_u32_e32 v11, vcc, v10, v7
	v_addc_co_u32_e32 v12, vcc, 0, v8, vcc
	v_mad_u64_u32 v[7:8], s[0:1], v6, v4, 0
	v_mad_u64_u32 v[9:10], s[0:1], v6, v9, 0
	v_add_co_u32_e32 v4, vcc, v11, v7
	v_addc_co_u32_e32 v4, vcc, v12, v8, vcc
	v_addc_co_u32_e32 v7, vcc, 0, v10, vcc
	v_add_co_u32_e32 v4, vcc, v4, v9
	v_addc_co_u32_e32 v9, vcc, 0, v7, vcc
	v_mul_lo_u32 v10, s19, v4
	v_mul_lo_u32 v11, s18, v9
	v_mad_u64_u32 v[7:8], s[0:1], s18, v4, 0
	v_add3_u32 v8, v8, v11, v10
	v_sub_u32_e32 v10, v6, v8
	v_mov_b32_e32 v11, s19
	v_sub_co_u32_e32 v7, vcc, v5, v7
	v_subb_co_u32_e64 v10, s[0:1], v10, v11, vcc
	v_subrev_co_u32_e64 v11, s[0:1], s18, v7
	v_subbrev_co_u32_e64 v10, s[0:1], 0, v10, s[0:1]
	v_cmp_le_u32_e64 s[0:1], s19, v10
	v_cndmask_b32_e64 v12, 0, -1, s[0:1]
	v_cmp_le_u32_e64 s[0:1], s18, v11
	v_cndmask_b32_e64 v11, 0, -1, s[0:1]
	v_cmp_eq_u32_e64 s[0:1], s19, v10
	v_cndmask_b32_e64 v10, v12, v11, s[0:1]
	v_add_co_u32_e64 v11, s[0:1], 2, v4
	v_addc_co_u32_e64 v12, s[0:1], 0, v9, s[0:1]
	v_add_co_u32_e64 v13, s[0:1], 1, v4
	v_addc_co_u32_e64 v14, s[0:1], 0, v9, s[0:1]
	v_subb_co_u32_e32 v8, vcc, v6, v8, vcc
	v_cmp_ne_u32_e64 s[0:1], 0, v10
	v_cmp_le_u32_e32 vcc, s19, v8
	v_cndmask_b32_e64 v10, v14, v12, s[0:1]
	v_cndmask_b32_e64 v12, 0, -1, vcc
	v_cmp_le_u32_e32 vcc, s18, v7
	v_cndmask_b32_e64 v7, 0, -1, vcc
	v_cmp_eq_u32_e32 vcc, s19, v8
	v_cndmask_b32_e32 v7, v12, v7, vcc
	v_cmp_ne_u32_e32 vcc, 0, v7
	v_cndmask_b32_e64 v7, v13, v11, s[0:1]
	v_cndmask_b32_e32 v8, v9, v10, vcc
	v_cndmask_b32_e32 v7, v4, v7, vcc
.LBB0_4:                                ;   in Loop: Header=BB0_2 Depth=1
	s_andn2_saveexec_b64 s[0:1], s[20:21]
	s_cbranch_execz .LBB0_6
; %bb.5:                                ;   in Loop: Header=BB0_2 Depth=1
	v_cvt_f32_u32_e32 v4, s18
	s_sub_i32 s20, 0, s18
	v_rcp_iflag_f32_e32 v4, v4
	v_mul_f32_e32 v4, 0x4f7ffffe, v4
	v_cvt_u32_f32_e32 v4, v4
	v_mul_lo_u32 v7, s20, v4
	v_mul_hi_u32 v7, v4, v7
	v_add_u32_e32 v4, v4, v7
	v_mul_hi_u32 v4, v5, v4
	v_mul_lo_u32 v7, v4, s18
	v_add_u32_e32 v8, 1, v4
	v_sub_u32_e32 v7, v5, v7
	v_subrev_u32_e32 v9, s18, v7
	v_cmp_le_u32_e32 vcc, s18, v7
	v_cndmask_b32_e32 v7, v7, v9, vcc
	v_cndmask_b32_e32 v4, v4, v8, vcc
	v_add_u32_e32 v8, 1, v4
	v_cmp_le_u32_e32 vcc, s18, v7
	v_cndmask_b32_e32 v7, v4, v8, vcc
	v_mov_b32_e32 v8, v3
.LBB0_6:                                ;   in Loop: Header=BB0_2 Depth=1
	s_or_b64 exec, exec, s[0:1]
	v_mul_lo_u32 v4, v8, s18
	v_mul_lo_u32 v11, v7, s19
	v_mad_u64_u32 v[9:10], s[0:1], v7, s18, 0
	s_load_dwordx2 s[0:1], s[6:7], 0x0
	s_add_u32 s16, s16, 1
	v_add3_u32 v4, v10, v11, v4
	v_sub_co_u32_e32 v5, vcc, v5, v9
	v_subb_co_u32_e32 v4, vcc, v6, v4, vcc
	s_waitcnt lgkmcnt(0)
	v_mul_lo_u32 v4, s0, v4
	v_mul_lo_u32 v6, s1, v5
	v_mad_u64_u32 v[1:2], s[0:1], s0, v5, v[1:2]
	s_addc_u32 s17, s17, 0
	s_add_u32 s6, s6, 8
	v_add3_u32 v2, v6, v2, v4
	v_mov_b32_e32 v4, s10
	v_mov_b32_e32 v5, s11
	s_addc_u32 s7, s7, 0
	v_cmp_ge_u64_e32 vcc, s[16:17], v[4:5]
	s_add_u32 s14, s14, 8
	s_addc_u32 s15, s15, 0
	s_cbranch_vccnz .LBB0_9
; %bb.7:                                ;   in Loop: Header=BB0_2 Depth=1
	v_mov_b32_e32 v5, v7
	v_mov_b32_e32 v6, v8
	s_branch .LBB0_2
.LBB0_8:
	v_mov_b32_e32 v8, v6
	v_mov_b32_e32 v7, v5
.LBB0_9:
	s_lshl_b64 s[0:1], s[10:11], 3
	s_add_u32 s0, s12, s0
	s_addc_u32 s1, s13, s1
	s_load_dwordx2 s[6:7], s[0:1], 0x0
	s_load_dwordx2 s[10:11], s[4:5], 0x20
	v_mov_b32_e32 v98, 0
	v_mov_b32_e32 v99, 0
                                        ; implicit-def: $vgpr46_vgpr47
                                        ; implicit-def: $vgpr50_vgpr51
                                        ; implicit-def: $vgpr54_vgpr55
                                        ; implicit-def: $vgpr38_vgpr39
                                        ; implicit-def: $vgpr30_vgpr31
                                        ; implicit-def: $vgpr18_vgpr19
                                        ; implicit-def: $vgpr10_vgpr11
                                        ; implicit-def: $vgpr14_vgpr15
                                        ; implicit-def: $vgpr22_vgpr23
                                        ; implicit-def: $vgpr34_vgpr35
                                        ; implicit-def: $vgpr42_vgpr43
                                        ; implicit-def: $vgpr58_vgpr59
                                        ; implicit-def: $vgpr66_vgpr67
                                        ; implicit-def: $vgpr62_vgpr63
                                        ; implicit-def: $vgpr26_vgpr27
	s_waitcnt lgkmcnt(0)
	v_mad_u64_u32 v[1:2], s[0:1], s6, v7, v[1:2]
	v_mul_lo_u32 v3, s6, v8
	v_mul_lo_u32 v4, s7, v7
	s_mov_b32 s0, 0x226b903
	v_mul_hi_u32 v5, v0, s0
	v_cmp_gt_u64_e64 s[0:1], s[10:11], v[7:8]
	v_add3_u32 v2, v4, v2, v3
	v_lshlrev_b64 v[96:97], 4, v[1:2]
	v_mul_u32_u24_e32 v3, 0x77, v5
	v_sub_u32_e32 v100, v0, v3
                                        ; implicit-def: $vgpr2_vgpr3
                                        ; implicit-def: $vgpr6_vgpr7
	s_and_saveexec_b64 s[4:5], s[0:1]
	s_cbranch_execz .LBB0_11
; %bb.10:
	v_mov_b32_e32 v101, 0
	v_mov_b32_e32 v0, s3
	v_add_co_u32_e32 v2, vcc, s2, v96
	v_addc_co_u32_e32 v3, vcc, v0, v97, vcc
	v_lshlrev_b64 v[0:1], 4, v[100:101]
	s_movk_i32 s6, 0x1000
	v_add_co_u32_e32 v0, vcc, v2, v0
	v_addc_co_u32_e32 v1, vcc, v3, v1, vcc
	v_add_co_u32_e32 v68, vcc, s6, v0
	v_addc_co_u32_e32 v69, vcc, 0, v1, vcc
	s_movk_i32 s6, 0x2000
	v_add_co_u32_e32 v70, vcc, s6, v0
	v_addc_co_u32_e32 v71, vcc, 0, v1, vcc
	s_movk_i32 s6, 0x3000
	;; [unrolled: 3-line block ×5, first 2 shown]
	v_add_co_u32_e32 v78, vcc, s6, v0
	v_addc_co_u32_e32 v79, vcc, 0, v1, vcc
	v_add_co_u32_e32 v80, vcc, 0x7000, v0
	global_load_dwordx4 v[24:27], v[0:1], off
	global_load_dwordx4 v[60:63], v[0:1], off offset:1904
	global_load_dwordx4 v[64:67], v[0:1], off offset:3808
	;; [unrolled: 1-line block ×3, first 2 shown]
	v_addc_co_u32_e32 v81, vcc, 0, v1, vcc
	global_load_dwordx4 v[40:43], v[68:69], off offset:3520
	global_load_dwordx4 v[32:35], v[70:71], off offset:1328
	global_load_dwordx4 v[20:23], v[70:71], off offset:3232
	global_load_dwordx4 v[12:15], v[72:73], off offset:1040
	global_load_dwordx4 v[4:7], v[72:73], off offset:2944
	global_load_dwordx4 v[0:3], v[74:75], off offset:752
	global_load_dwordx4 v[8:11], v[74:75], off offset:2656
	global_load_dwordx4 v[16:19], v[76:77], off offset:464
	global_load_dwordx4 v[28:31], v[76:77], off offset:2368
	global_load_dwordx4 v[36:39], v[78:79], off offset:176
	global_load_dwordx4 v[52:55], v[78:79], off offset:2080
	global_load_dwordx4 v[48:51], v[78:79], off offset:3984
	global_load_dwordx4 v[44:47], v[80:81], off offset:1792
	v_mov_b32_e32 v98, v100
	v_mov_b32_e32 v99, v101
.LBB0_11:
	s_or_b64 exec, exec, s[4:5]
	s_waitcnt vmcnt(15)
	v_add_f64 v[68:69], v[60:61], v[24:25]
	s_waitcnt vmcnt(0)
	v_add_f64 v[72:73], v[62:63], -v[46:47]
	s_mov_b32 s34, 0xeb564b22
	s_mov_b32 s35, 0xbfefdd0d
	v_add_f64 v[70:71], v[44:45], v[60:61]
	v_add_f64 v[76:77], v[66:67], -v[50:51]
	s_mov_b32 s28, 0x5d8e7cdc
	s_mov_b32 s36, 0x2a9d6da3
	v_add_f64 v[68:69], v[64:65], v[68:69]
	v_mul_f64 v[84:85], v[72:73], s[34:35]
	s_mov_b32 s40, 0x7c9e640b
	s_mov_b32 s6, 0x3259b75e
	;; [unrolled: 1-line block ×6, first 2 shown]
	v_add_f64 v[68:69], v[56:57], v[68:69]
	s_mov_b32 s7, 0x3fb79ee6
	s_mov_b32 s31, 0xbfc7851a
	v_add_f64 v[74:75], v[48:49], v[64:65]
	v_mul_f64 v[78:79], v[72:73], s[28:29]
	v_mul_f64 v[80:81], v[72:73], s[36:37]
	;; [unrolled: 1-line block ×4, first 2 shown]
	v_add_f64 v[68:69], v[40:41], v[68:69]
	v_fma_f64 v[117:118], v[70:71], s[6:7], v[84:85]
	v_fma_f64 v[84:85], v[70:71], s[6:7], -v[84:85]
	s_mov_b32 s18, 0x370991
	s_mov_b32 s16, 0x75d4884
	;; [unrolled: 1-line block ×5, first 2 shown]
	v_add_f64 v[68:69], v[32:33], v[68:69]
	s_mov_b32 s24, 0x4363dd80
	s_mov_b32 s26, 0x7faef3
	;; [unrolled: 1-line block ×7, first 2 shown]
	v_add_f64 v[68:69], v[20:21], v[68:69]
	s_mov_b32 s25, 0xbfe0d888
	s_mov_b32 s27, 0xbfef7484
	;; [unrolled: 1-line block ×4, first 2 shown]
	v_mul_f64 v[86:87], v[72:73], s[14:15]
	v_mul_f64 v[88:89], v[72:73], s[20:21]
	;; [unrolled: 1-line block ×3, first 2 shown]
	v_add_f64 v[68:69], v[12:13], v[68:69]
	v_mul_f64 v[72:73], v[72:73], s[30:31]
	v_mul_f64 v[92:93], v[76:77], s[36:37]
	;; [unrolled: 1-line block ×5, first 2 shown]
	v_fma_f64 v[111:112], v[70:71], s[18:19], v[78:79]
	v_fma_f64 v[78:79], v[70:71], s[18:19], -v[78:79]
	v_add_f64 v[68:69], v[4:5], v[68:69]
	v_fma_f64 v[113:114], v[70:71], s[16:17], v[80:81]
	v_fma_f64 v[80:81], v[70:71], s[16:17], -v[80:81]
	v_fma_f64 v[115:116], v[70:71], s[4:5], v[82:83]
	v_fma_f64 v[131:132], v[74:75], s[26:27], v[103:104]
	v_fma_f64 v[103:104], v[74:75], s[26:27], -v[103:104]
	v_add_f64 v[84:85], v[24:25], v[84:85]
	s_mov_b32 s10, 0xc61f0d01
	v_add_f64 v[68:69], v[0:1], v[68:69]
	s_mov_b32 s12, 0x6ed5f1bb
	s_mov_b32 s22, 0x910ea3b9
	;; [unrolled: 1-line block ×7, first 2 shown]
	v_add_f64 v[68:69], v[8:9], v[68:69]
	s_mov_b32 s42, s14
	s_mov_b32 s38, s40
	v_mul_f64 v[107:108], v[76:77], s[42:43]
	v_mul_f64 v[109:110], v[76:77], s[38:39]
	v_fma_f64 v[82:83], v[70:71], s[4:5], -v[82:83]
	v_fma_f64 v[119:120], v[70:71], s[10:11], v[86:87]
	v_fma_f64 v[86:87], v[70:71], s[10:11], -v[86:87]
	v_add_f64 v[68:69], v[16:17], v[68:69]
	v_fma_f64 v[121:122], v[70:71], s[12:13], v[88:89]
	v_fma_f64 v[88:89], v[70:71], s[12:13], -v[88:89]
	v_fma_f64 v[123:124], v[70:71], s[22:23], v[90:91]
	v_fma_f64 v[90:91], v[70:71], s[22:23], -v[90:91]
	;; [unrolled: 2-line block ×3, first 2 shown]
	v_fma_f64 v[72:73], v[74:75], s[16:17], v[92:93]
	v_add_f64 v[68:69], v[28:29], v[68:69]
	v_fma_f64 v[92:93], v[74:75], s[16:17], -v[92:93]
	v_fma_f64 v[127:128], v[74:75], s[6:7], v[94:95]
	v_fma_f64 v[94:95], v[74:75], s[6:7], -v[94:95]
	v_fma_f64 v[129:130], v[74:75], s[12:13], v[101:102]
	v_fma_f64 v[133:134], v[74:75], s[22:23], v[105:106]
	v_add_f64 v[111:112], v[24:25], v[111:112]
	v_add_f64 v[78:79], v[24:25], v[78:79]
	;; [unrolled: 1-line block ×8, first 2 shown]
	v_fma_f64 v[103:104], v[74:75], s[22:23], -v[105:106]
	v_add_f64 v[105:106], v[58:59], -v[54:55]
	v_add_f64 v[68:69], v[52:53], v[68:69]
	s_mov_b32 s45, 0x3fd71e95
	s_mov_b32 s44, s28
	v_add_f64 v[82:83], v[24:25], v[82:83]
	v_add_f64 v[119:120], v[24:25], v[119:120]
	;; [unrolled: 1-line block ×16, first 2 shown]
	v_fma_f64 v[111:112], v[74:75], s[10:11], v[107:108]
	v_fma_f64 v[113:114], v[74:75], s[4:5], v[109:110]
	v_mul_f64 v[76:77], v[76:77], s[44:45]
	v_add_f64 v[115:116], v[52:53], v[56:57]
	v_mul_f64 v[117:118], v[105:106], s[40:41]
	v_fma_f64 v[109:110], v[74:75], s[4:5], -v[109:110]
	v_fma_f64 v[101:102], v[74:75], s[12:13], -v[101:102]
	;; [unrolled: 1-line block ×3, first 2 shown]
	v_add_f64 v[86:87], v[103:104], v[86:87]
	v_add_f64 v[103:104], v[111:112], v[121:122]
	v_fma_f64 v[111:112], v[74:75], s[18:19], v[76:77]
	v_fma_f64 v[74:75], v[74:75], s[18:19], -v[76:77]
	v_fma_f64 v[76:77], v[115:116], s[4:5], v[117:118]
	v_add_f64 v[90:91], v[109:110], v[90:91]
	v_mul_f64 v[109:110], v[105:106], s[20:21]
	s_mov_b32 s55, 0x3fc7851a
	s_mov_b32 s54, s30
	;; [unrolled: 1-line block ×4, first 2 shown]
	v_add_f64 v[88:89], v[107:108], v[88:89]
	v_add_f64 v[107:108], v[113:114], v[123:124]
	v_mul_f64 v[113:114], v[105:106], s[54:55]
	v_add_f64 v[70:71], v[74:75], v[70:71]
	v_add_f64 v[68:69], v[76:77], v[68:69]
	v_fma_f64 v[74:75], v[115:116], s[4:5], -v[117:118]
	v_fma_f64 v[76:77], v[115:116], s[12:13], v[109:110]
	v_mul_f64 v[117:118], v[105:106], s[42:43]
	v_fma_f64 v[109:110], v[115:116], s[12:13], -v[109:110]
	v_mul_f64 v[121:122], v[105:106], s[46:47]
	v_add_f64 v[82:83], v[101:102], v[82:83]
	v_add_f64 v[101:102], v[133:134], v[119:120]
	v_fma_f64 v[119:120], v[115:116], s[26:27], v[113:114]
	v_add_f64 v[72:73], v[74:75], v[72:73]
	v_fma_f64 v[74:75], v[115:116], s[26:27], -v[113:114]
	v_fma_f64 v[113:114], v[115:116], s[10:11], v[117:118]
	v_add_f64 v[76:77], v[76:77], v[78:79]
	v_add_f64 v[78:79], v[109:110], v[80:81]
	v_fma_f64 v[80:81], v[115:116], s[10:11], -v[117:118]
	v_fma_f64 v[109:110], v[115:116], s[16:17], v[121:122]
	v_mul_f64 v[117:118], v[105:106], s[28:29]
	v_add_f64 v[111:112], v[111:112], v[125:126]
	v_add_f64 v[74:75], v[74:75], v[82:83]
	;; [unrolled: 1-line block ×3, first 2 shown]
	v_mul_f64 v[94:95], v[105:106], s[34:35]
	v_fma_f64 v[113:114], v[115:116], s[16:17], -v[121:122]
	v_add_f64 v[80:81], v[80:81], v[84:85]
	v_add_f64 v[84:85], v[42:43], -v[38:39]
	v_add_f64 v[101:102], v[109:110], v[101:102]
	v_fma_f64 v[109:110], v[115:116], s[18:19], v[117:118]
	v_mul_f64 v[105:106], v[105:106], s[24:25]
	v_add_f64 v[92:93], v[119:120], v[92:93]
	v_fma_f64 v[117:118], v[115:116], s[18:19], -v[117:118]
	v_fma_f64 v[119:120], v[115:116], s[6:7], v[94:95]
	v_add_f64 v[86:87], v[113:114], v[86:87]
	v_add_f64 v[113:114], v[36:37], v[40:41]
	v_mul_f64 v[121:122], v[84:85], s[34:35]
	v_fma_f64 v[94:95], v[115:116], s[6:7], -v[94:95]
	v_add_f64 v[103:104], v[109:110], v[103:104]
	v_fma_f64 v[109:110], v[115:116], s[22:23], v[105:106]
	v_add_f64 v[88:89], v[117:118], v[88:89]
	v_add_f64 v[107:108], v[119:120], v[107:108]
	v_mul_f64 v[119:120], v[84:85], s[44:45]
	v_fma_f64 v[105:106], v[115:116], s[22:23], -v[105:106]
	v_fma_f64 v[117:118], v[113:114], s[6:7], v[121:122]
	v_add_f64 v[90:91], v[94:95], v[90:91]
	v_mul_f64 v[94:95], v[84:85], s[42:43]
	v_add_f64 v[109:110], v[109:110], v[111:112]
	v_fma_f64 v[111:112], v[113:114], s[6:7], -v[121:122]
	v_mul_f64 v[115:116], v[84:85], s[30:31]
	v_mul_f64 v[121:122], v[84:85], s[40:41]
	v_add_f64 v[70:71], v[105:106], v[70:71]
	v_add_f64 v[68:69], v[117:118], v[68:69]
	s_mov_b32 s53, 0x3fe9895b
	v_fma_f64 v[117:118], v[113:114], s[10:11], v[94:95]
	v_fma_f64 v[94:95], v[113:114], s[10:11], -v[94:95]
	v_add_f64 v[72:73], v[111:112], v[72:73]
	v_fma_f64 v[111:112], v[113:114], s[18:19], v[119:120]
	v_fma_f64 v[105:106], v[113:114], s[26:27], v[115:116]
	v_fma_f64 v[115:116], v[113:114], s[26:27], -v[115:116]
	s_mov_b32 s52, s20
	s_mov_b32 s51, 0x3fefdd0d
	v_add_f64 v[92:93], v[117:118], v[92:93]
	v_add_f64 v[74:75], v[94:95], v[74:75]
	v_fma_f64 v[94:95], v[113:114], s[18:19], -v[119:120]
	v_add_f64 v[82:83], v[111:112], v[82:83]
	v_fma_f64 v[111:112], v[113:114], s[4:5], v[121:122]
	v_add_f64 v[76:77], v[105:106], v[76:77]
	v_mul_f64 v[105:106], v[84:85], s[24:25]
	v_add_f64 v[78:79], v[115:116], v[78:79]
	v_fma_f64 v[115:116], v[113:114], s[4:5], -v[121:122]
	v_mul_f64 v[119:120], v[84:85], s[52:53]
	v_add_f64 v[80:81], v[94:95], v[80:81]
	v_mul_f64 v[84:85], v[84:85], s[46:47]
	v_add_f64 v[94:95], v[111:112], v[101:102]
	v_add_f64 v[101:102], v[34:35], -v[30:31]
	v_fma_f64 v[117:118], v[113:114], s[22:23], v[105:106]
	v_fma_f64 v[105:106], v[113:114], s[22:23], -v[105:106]
	v_add_f64 v[86:87], v[115:116], v[86:87]
	v_fma_f64 v[111:112], v[113:114], s[12:13], v[119:120]
	v_fma_f64 v[115:116], v[113:114], s[12:13], -v[119:120]
	v_add_f64 v[119:120], v[28:29], v[32:33]
	s_mov_b32 s50, s34
	v_mul_f64 v[121:122], v[101:102], s[14:15]
	v_add_f64 v[103:104], v[117:118], v[103:104]
	v_fma_f64 v[117:118], v[113:114], s[16:17], v[84:85]
	v_fma_f64 v[84:85], v[113:114], s[16:17], -v[84:85]
	v_add_f64 v[88:89], v[105:106], v[88:89]
	v_mul_f64 v[105:106], v[101:102], s[48:49]
	v_add_f64 v[107:108], v[111:112], v[107:108]
	v_mul_f64 v[111:112], v[101:102], s[46:47]
	v_fma_f64 v[113:114], v[119:120], s[10:11], v[121:122]
	v_add_f64 v[90:91], v[115:116], v[90:91]
	v_add_f64 v[109:110], v[117:118], v[109:110]
	;; [unrolled: 1-line block ×3, first 2 shown]
	v_fma_f64 v[84:85], v[119:120], s[10:11], -v[121:122]
	v_fma_f64 v[115:116], v[119:120], s[22:23], v[105:106]
	v_fma_f64 v[105:106], v[119:120], s[22:23], -v[105:106]
	v_fma_f64 v[117:118], v[119:120], s[16:17], v[111:112]
	v_mul_f64 v[121:122], v[101:102], s[40:41]
	v_fma_f64 v[111:112], v[119:120], s[16:17], -v[111:112]
	v_add_f64 v[68:69], v[113:114], v[68:69]
	v_mul_f64 v[113:114], v[101:102], s[30:31]
	v_add_f64 v[72:73], v[84:85], v[72:73]
	v_add_f64 v[76:77], v[115:116], v[76:77]
	;; [unrolled: 1-line block ×4, first 2 shown]
	v_fma_f64 v[92:93], v[119:120], s[4:5], v[121:122]
	v_add_f64 v[74:75], v[111:112], v[74:75]
	v_fma_f64 v[105:106], v[119:120], s[4:5], -v[121:122]
	v_fma_f64 v[111:112], v[119:120], s[26:27], v[113:114]
	v_mul_f64 v[115:116], v[101:102], s[50:51]
	v_fma_f64 v[113:114], v[119:120], s[26:27], -v[113:114]
	v_add_f64 v[117:118], v[16:17], v[20:21]
	v_add_f64 v[24:25], v[44:45], v[24:25]
	;; [unrolled: 1-line block ×3, first 2 shown]
	v_mul_f64 v[92:93], v[101:102], s[28:29]
	v_add_f64 v[80:81], v[105:106], v[80:81]
	v_add_f64 v[94:95], v[111:112], v[94:95]
	v_add_f64 v[105:106], v[22:23], -v[18:19]
	v_mul_f64 v[101:102], v[101:102], s[20:21]
	v_fma_f64 v[111:112], v[119:120], s[6:7], v[115:116]
	v_add_f64 v[86:87], v[113:114], v[86:87]
	v_fma_f64 v[113:114], v[119:120], s[6:7], -v[115:116]
	v_fma_f64 v[115:116], v[119:120], s[18:19], v[92:93]
	v_fma_f64 v[92:93], v[119:120], s[18:19], -v[92:93]
	s_movk_i32 s33, 0x88
	v_mul_f64 v[121:122], v[105:106], s[20:21]
	v_fma_f64 v[123:124], v[119:120], s[12:13], v[101:102]
	v_add_f64 v[103:104], v[111:112], v[103:104]
	v_fma_f64 v[101:102], v[119:120], s[12:13], -v[101:102]
	v_mul_f64 v[111:112], v[105:106], s[42:43]
	v_add_f64 v[107:108], v[115:116], v[107:108]
	v_add_f64 v[90:91], v[92:93], v[90:91]
	v_mul_f64 v[115:116], v[105:106], s[24:25]
	v_fma_f64 v[92:93], v[117:118], s[12:13], v[121:122]
	v_add_f64 v[88:89], v[113:114], v[88:89]
	v_mul_f64 v[113:114], v[105:106], s[28:29]
	v_add_f64 v[70:71], v[101:102], v[70:71]
	v_fma_f64 v[101:102], v[117:118], s[12:13], -v[121:122]
	v_fma_f64 v[119:120], v[117:118], s[10:11], v[111:112]
	v_fma_f64 v[111:112], v[117:118], s[10:11], -v[111:112]
	v_add_f64 v[109:110], v[123:124], v[109:110]
	v_add_f64 v[68:69], v[92:93], v[68:69]
	v_mul_f64 v[92:93], v[105:106], s[50:51]
	v_fma_f64 v[121:122], v[117:118], s[18:19], v[113:114]
	v_fma_f64 v[113:114], v[117:118], s[18:19], -v[113:114]
	v_add_f64 v[72:73], v[101:102], v[72:73]
	v_fma_f64 v[101:102], v[117:118], s[22:23], v[115:116]
	v_add_f64 v[78:79], v[111:112], v[78:79]
	v_fma_f64 v[111:112], v[117:118], s[22:23], -v[115:116]
	v_add_f64 v[76:77], v[119:120], v[76:77]
	v_fma_f64 v[115:116], v[117:118], s[6:7], v[92:93]
	v_fma_f64 v[92:93], v[117:118], s[6:7], -v[92:93]
	v_add_f64 v[84:85], v[121:122], v[84:85]
	v_add_f64 v[74:75], v[113:114], v[74:75]
	;; [unrolled: 1-line block ×3, first 2 shown]
	v_mul_f64 v[101:102], v[105:106], s[30:31]
	v_add_f64 v[80:81], v[111:112], v[80:81]
	v_add_f64 v[111:112], v[14:15], -v[10:11]
	v_mul_f64 v[113:114], v[105:106], s[36:37]
	v_add_f64 v[86:87], v[92:93], v[86:87]
	v_add_f64 v[119:120], v[8:9], v[12:13]
	v_mul_f64 v[105:106], v[105:106], s[38:39]
	v_add_f64 v[94:95], v[115:116], v[94:95]
	v_fma_f64 v[92:93], v[117:118], s[26:27], v[101:102]
	v_fma_f64 v[101:102], v[117:118], s[26:27], -v[101:102]
	v_mul_f64 v[121:122], v[111:112], s[24:25]
	v_fma_f64 v[115:116], v[117:118], s[16:17], v[113:114]
	v_fma_f64 v[113:114], v[117:118], s[16:17], -v[113:114]
	v_cmp_gt_u32_e32 vcc, 51, v100
	v_fma_f64 v[123:124], v[117:118], s[4:5], v[105:106]
	v_fma_f64 v[105:106], v[117:118], s[4:5], -v[105:106]
	v_add_f64 v[92:93], v[92:93], v[107:108]
	v_mul_f64 v[107:108], v[111:112], s[38:39]
	v_add_f64 v[90:91], v[101:102], v[90:91]
	v_fma_f64 v[101:102], v[119:120], s[22:23], v[121:122]
	v_add_f64 v[88:89], v[113:114], v[88:89]
	v_mul_f64 v[113:114], v[111:112], s[34:35]
	v_add_f64 v[103:104], v[115:116], v[103:104]
	v_fma_f64 v[115:116], v[119:120], s[22:23], -v[121:122]
	v_add_f64 v[70:71], v[105:106], v[70:71]
	v_fma_f64 v[117:118], v[119:120], s[4:5], v[107:108]
	v_fma_f64 v[107:108], v[119:120], s[4:5], -v[107:108]
	v_add_f64 v[68:69], v[101:102], v[68:69]
	v_mul_f64 v[101:102], v[111:112], s[28:29]
	v_mul_f64 v[105:106], v[111:112], s[52:53]
	v_fma_f64 v[121:122], v[119:120], s[6:7], v[113:114]
	v_fma_f64 v[113:114], v[119:120], s[6:7], -v[113:114]
	v_add_f64 v[72:73], v[115:116], v[72:73]
	v_add_f64 v[76:77], v[117:118], v[76:77]
	;; [unrolled: 1-line block ×3, first 2 shown]
	v_mul_f64 v[117:118], v[111:112], s[30:31]
	v_fma_f64 v[107:108], v[119:120], s[18:19], v[101:102]
	v_fma_f64 v[115:116], v[119:120], s[12:13], v[105:106]
	v_fma_f64 v[105:106], v[119:120], s[12:13], -v[105:106]
	v_add_f64 v[74:75], v[113:114], v[74:75]
	v_fma_f64 v[101:102], v[119:120], s[18:19], -v[101:102]
	v_mul_f64 v[113:114], v[111:112], s[46:47]
	v_add_f64 v[84:85], v[121:122], v[84:85]
	v_mul_f64 v[111:112], v[111:112], s[14:15]
	v_add_f64 v[94:95], v[107:108], v[94:95]
	v_add_f64 v[107:108], v[6:7], -v[2:3]
	v_add_f64 v[80:81], v[105:106], v[80:81]
	v_fma_f64 v[105:106], v[119:120], s[26:27], v[117:118]
	v_add_f64 v[82:83], v[115:116], v[82:83]
	v_fma_f64 v[115:116], v[119:120], s[26:27], -v[117:118]
	v_add_f64 v[86:87], v[101:102], v[86:87]
	v_fma_f64 v[101:102], v[119:120], s[16:17], v[113:114]
	v_fma_f64 v[113:114], v[119:120], s[16:17], -v[113:114]
	v_add_f64 v[117:118], v[0:1], v[4:5]
	v_mul_f64 v[121:122], v[107:108], s[30:31]
	v_add_f64 v[109:110], v[123:124], v[109:110]
	v_add_f64 v[123:124], v[105:106], v[103:104]
	v_mul_f64 v[105:106], v[107:108], s[44:45]
	v_add_f64 v[88:89], v[115:116], v[88:89]
	v_fma_f64 v[103:104], v[119:120], s[10:11], v[111:112]
	v_add_f64 v[92:93], v[101:102], v[92:93]
	v_add_f64 v[90:91], v[113:114], v[90:91]
	v_fma_f64 v[101:102], v[119:120], s[10:11], -v[111:112]
	v_mul_f64 v[113:114], v[107:108], s[24:25]
	v_fma_f64 v[115:116], v[117:118], s[26:27], -v[121:122]
	v_fma_f64 v[111:112], v[117:118], s[26:27], v[121:122]
	v_fma_f64 v[119:120], v[117:118], s[18:19], v[105:106]
	v_fma_f64 v[105:106], v[117:118], s[18:19], -v[105:106]
	v_mul_f64 v[121:122], v[107:108], s[46:47]
	v_add_f64 v[109:110], v[103:104], v[109:110]
	v_add_f64 v[70:71], v[101:102], v[70:71]
	v_fma_f64 v[101:102], v[117:118], s[22:23], v[113:114]
	v_add_f64 v[103:104], v[115:116], v[72:73]
	v_fma_f64 v[72:73], v[117:118], s[22:23], -v[113:114]
	v_mul_f64 v[113:114], v[107:108], s[20:21]
	v_add_f64 v[105:106], v[105:106], v[78:79]
	v_fma_f64 v[78:79], v[117:118], s[16:17], v[121:122]
	v_add_f64 v[68:69], v[111:112], v[68:69]
	v_fma_f64 v[111:112], v[117:118], s[16:17], -v[121:122]
	v_add_f64 v[84:85], v[101:102], v[84:85]
	v_mul_f64 v[115:116], v[107:108], s[38:39]
	v_add_f64 v[101:102], v[72:73], v[74:75]
	v_mul_f64 v[72:73], v[107:108], s[14:15]
	v_mul_f64 v[74:75], v[107:108], s[50:51]
	v_add_f64 v[78:79], v[78:79], v[82:83]
	v_fma_f64 v[82:83], v[117:118], s[12:13], v[113:114]
	v_add_f64 v[80:81], v[111:112], v[80:81]
	v_fma_f64 v[107:108], v[117:118], s[12:13], -v[113:114]
	v_fma_f64 v[111:112], v[117:118], s[4:5], v[115:116]
	v_fma_f64 v[113:114], v[117:118], s[4:5], -v[115:116]
	v_fma_f64 v[115:116], v[117:118], s[10:11], v[72:73]
	v_add_f64 v[76:77], v[119:120], v[76:77]
	v_fma_f64 v[119:120], v[117:118], s[6:7], v[74:75]
	v_fma_f64 v[74:75], v[117:118], s[6:7], -v[74:75]
	v_fma_f64 v[72:73], v[117:118], s[10:11], -v[72:73]
	v_add_f64 v[82:83], v[82:83], v[94:95]
	v_add_f64 v[94:95], v[111:112], v[123:124]
	;; [unrolled: 1-line block ×8, first 2 shown]
	v_mad_u32_u24 v115, v100, s33, 0
	ds_write2_b64 v115, v[24:25], v[68:69] offset1:1
	ds_write2_b64 v115, v[76:77], v[84:85] offset0:2 offset1:3
	ds_write2_b64 v115, v[78:79], v[82:83] offset0:4 offset1:5
	;; [unrolled: 1-line block ×7, first 2 shown]
	ds_write_b64 v115, v[103:104] offset:128
	v_lshlrev_b32_e32 v24, 7, v100
	v_sub_u32_e32 v123, v115, v24
	v_add_u32_e32 v24, 0x800, v123
	v_add_u32_e32 v116, 0x1000, v123
	;; [unrolled: 1-line block ×6, first 2 shown]
	s_waitcnt lgkmcnt(0)
	s_barrier
	ds_read2_b64 v[68:71], v123 offset1:119
	ds_read2_b64 v[72:75], v24 offset0:33 offset1:152
	ds_read2_b64 v[76:79], v116 offset0:66 offset1:185
	;; [unrolled: 1-line block ×6, first 2 shown]
                                        ; implicit-def: $vgpr107_vgpr108
                                        ; implicit-def: $vgpr109_vgpr110
                                        ; implicit-def: $vgpr111_vgpr112
                                        ; implicit-def: $vgpr113_vgpr114
	s_and_saveexec_b64 s[56:57], vcc
	s_cbranch_execz .LBB0_13
; %bb.12:
	ds_read_b64 v[101:102], v123 offset:1904
	ds_read_b64 v[105:106], v123 offset:4216
	ds_read_b64 v[103:104], v123 offset:6528
	ds_read_b64 v[113:114], v123 offset:8840
	ds_read_b64 v[111:112], v123 offset:11152
	ds_read_b64 v[109:110], v123 offset:13464
	ds_read_b64 v[107:108], v123 offset:15776
.LBB0_13:
	s_or_b64 exec, exec, s[56:57]
	v_add_f64 v[121:122], v[62:63], v[26:27]
	v_add_f64 v[52:53], v[56:57], -v[52:53]
	v_add_f64 v[44:45], v[60:61], -v[44:45]
	v_add_f64 v[60:61], v[46:47], v[62:63]
	v_add_f64 v[62:63], v[50:51], v[66:67]
	v_add_f64 v[48:49], v[64:65], -v[48:49]
	v_add_f64 v[64:65], v[54:55], v[58:59]
	v_add_f64 v[36:37], v[40:41], -v[36:37]
	v_add_f64 v[56:57], v[66:67], v[121:122]
	v_mul_f64 v[146:147], v[52:53], s[40:41]
	v_mul_f64 v[66:67], v[44:45], s[28:29]
	;; [unrolled: 1-line block ×7, first 2 shown]
	v_add_f64 v[56:57], v[58:59], v[56:57]
	v_mul_f64 v[132:133], v[44:45], s[24:25]
	v_mul_f64 v[44:45], v[44:45], s[30:31]
	v_fma_f64 v[156:157], v[60:61], s[18:19], -v[66:67]
	v_fma_f64 v[66:67], v[60:61], s[18:19], v[66:67]
	v_fma_f64 v[158:159], v[60:61], s[16:17], -v[121:122]
	v_fma_f64 v[121:122], v[60:61], s[16:17], v[121:122]
	v_fma_f64 v[160:161], v[60:61], s[4:5], -v[124:125]
	v_add_f64 v[56:57], v[42:43], v[56:57]
	v_fma_f64 v[124:125], v[60:61], s[4:5], v[124:125]
	v_fma_f64 v[162:163], v[60:61], s[6:7], -v[126:127]
	v_fma_f64 v[126:127], v[60:61], s[6:7], v[126:127]
	v_fma_f64 v[164:165], v[60:61], s[10:11], -v[128:129]
	;; [unrolled: 2-line block ×3, first 2 shown]
	v_fma_f64 v[130:131], v[60:61], s[12:13], v[130:131]
	v_add_f64 v[56:57], v[34:35], v[56:57]
	v_fma_f64 v[168:169], v[60:61], s[22:23], -v[132:133]
	v_fma_f64 v[132:133], v[60:61], s[22:23], v[132:133]
	v_fma_f64 v[170:171], v[60:61], s[26:27], -v[44:45]
	v_fma_f64 v[44:45], v[60:61], s[26:27], v[44:45]
	v_mul_f64 v[58:59], v[48:49], s[36:37]
	v_mul_f64 v[134:135], v[48:49], s[34:35]
	;; [unrolled: 1-line block ×3, first 2 shown]
	v_add_f64 v[56:57], v[22:23], v[56:57]
	v_mul_f64 v[138:139], v[48:49], s[30:31]
	v_add_f64 v[156:157], v[26:27], v[156:157]
	v_add_f64 v[66:67], v[26:27], v[66:67]
	;; [unrolled: 1-line block ×18, first 2 shown]
	v_mul_f64 v[140:141], v[48:49], s[48:49]
	v_mul_f64 v[142:143], v[48:49], s[42:43]
	;; [unrolled: 1-line block ×4, first 2 shown]
	v_add_f64 v[56:57], v[2:3], v[56:57]
	v_mul_f64 v[148:149], v[52:53], s[20:21]
	v_mul_f64 v[150:151], v[52:53], s[54:55]
	;; [unrolled: 1-line block ×3, first 2 shown]
	v_fma_f64 v[60:61], v[62:63], s[16:17], -v[58:59]
	v_fma_f64 v[58:59], v[62:63], s[16:17], v[58:59]
	v_fma_f64 v[172:173], v[62:63], s[6:7], -v[134:135]
	v_fma_f64 v[134:135], v[62:63], s[6:7], v[134:135]
	v_add_f64 v[56:57], v[10:11], v[56:57]
	v_fma_f64 v[174:175], v[62:63], s[12:13], -v[136:137]
	v_fma_f64 v[136:137], v[62:63], s[12:13], v[136:137]
	v_fma_f64 v[176:177], v[62:63], s[26:27], -v[138:139]
	v_mul_f64 v[154:155], v[52:53], s[46:47]
	v_fma_f64 v[138:139], v[62:63], s[26:27], v[138:139]
	v_fma_f64 v[178:179], v[62:63], s[22:23], -v[140:141]
	v_fma_f64 v[140:141], v[62:63], s[22:23], v[140:141]
	v_add_f64 v[56:57], v[18:19], v[56:57]
	v_fma_f64 v[180:181], v[62:63], s[10:11], -v[142:143]
	v_fma_f64 v[142:143], v[62:63], s[10:11], v[142:143]
	v_fma_f64 v[182:183], v[62:63], s[4:5], -v[144:145]
	v_fma_f64 v[144:145], v[62:63], s[4:5], v[144:145]
	v_fma_f64 v[184:185], v[62:63], s[18:19], -v[48:49]
	v_fma_f64 v[48:49], v[62:63], s[18:19], v[48:49]
	v_fma_f64 v[62:63], v[64:65], s[4:5], -v[146:147]
	v_add_f64 v[56:57], v[30:31], v[56:57]
	v_fma_f64 v[146:147], v[64:65], s[4:5], v[146:147]
	v_fma_f64 v[186:187], v[64:65], s[12:13], -v[148:149]
	v_fma_f64 v[148:149], v[64:65], s[12:13], v[148:149]
	v_fma_f64 v[188:189], v[64:65], s[26:27], -v[150:151]
	;; [unrolled: 2-line block ×3, first 2 shown]
	v_add_f64 v[58:59], v[58:59], v[66:67]
	v_add_f64 v[44:45], v[38:39], v[56:57]
	;; [unrolled: 1-line block ×16, first 2 shown]
	v_mul_f64 v[66:67], v[52:53], s[28:29]
	v_add_f64 v[44:45], v[50:51], v[44:45]
	v_fma_f64 v[121:122], v[64:65], s[16:17], v[154:155]
	v_mul_f64 v[40:41], v[52:53], s[24:25]
	v_add_f64 v[136:137], v[180:181], v[166:167]
	v_add_f64 v[130:131], v[142:143], v[130:131]
	;; [unrolled: 1-line block ×4, first 2 shown]
	v_mul_f64 v[42:43], v[36:37], s[34:35]
	v_add_f64 v[44:45], v[46:47], v[44:45]
	v_add_f64 v[46:47], v[150:151], v[124:125]
	;; [unrolled: 1-line block ×3, first 2 shown]
	v_mul_f64 v[134:135], v[52:53], s[34:35]
	v_fma_f64 v[52:53], v[64:65], s[18:19], -v[66:67]
	v_add_f64 v[121:122], v[121:122], v[128:129]
	v_fma_f64 v[66:67], v[64:65], s[18:19], v[66:67]
	v_fma_f64 v[140:141], v[64:65], s[22:23], -v[40:41]
	v_fma_f64 v[40:41], v[64:65], s[22:23], v[40:41]
	v_fma_f64 v[152:153], v[64:65], s[10:11], v[152:153]
	v_fma_f64 v[192:193], v[64:65], s[16:17], -v[154:155]
	v_fma_f64 v[128:129], v[64:65], s[6:7], -v[134:135]
	v_fma_f64 v[134:135], v[64:65], s[6:7], v[134:135]
	v_add_f64 v[54:55], v[138:139], v[126:127]
	v_add_f64 v[138:139], v[182:183], v[168:169]
	;; [unrolled: 1-line block ×4, first 2 shown]
	v_mul_f64 v[66:67], v[36:37], s[30:31]
	v_add_f64 v[25:26], v[40:41], v[25:26]
	v_fma_f64 v[40:41], v[38:39], s[6:7], v[42:43]
	v_add_f64 v[130:131], v[134:135], v[132:133]
	v_fma_f64 v[132:133], v[38:39], s[6:7], -v[42:43]
	v_mul_f64 v[134:135], v[36:37], s[42:43]
	v_mul_f64 v[136:137], v[36:37], s[44:45]
	v_add_f64 v[126:127], v[178:179], v[164:165]
	v_add_f64 v[128:129], v[128:129], v[138:139]
	v_fma_f64 v[42:43], v[38:39], s[26:27], -v[66:67]
	v_fma_f64 v[66:67], v[38:39], s[26:27], v[66:67]
	v_add_f64 v[40:41], v[40:41], v[56:57]
	v_add_f64 v[48:49], v[132:133], v[48:49]
	v_mul_f64 v[132:133], v[36:37], s[40:41]
	v_fma_f64 v[138:139], v[38:39], s[10:11], -v[134:135]
	v_fma_f64 v[134:135], v[38:39], s[10:11], v[134:135]
	v_fma_f64 v[56:57], v[38:39], s[18:19], -v[136:137]
	v_add_f64 v[54:55], v[152:153], v[54:55]
	v_add_f64 v[126:127], v[192:193], v[126:127]
	;; [unrolled: 1-line block ×4, first 2 shown]
	v_fma_f64 v[60:61], v[38:39], s[18:19], v[136:137]
	v_fma_f64 v[66:67], v[38:39], s[4:5], -v[132:133]
	v_add_f64 v[46:47], v[134:135], v[46:47]
	v_mul_f64 v[134:135], v[36:37], s[24:25]
	v_fma_f64 v[132:133], v[38:39], s[4:5], v[132:133]
	v_add_f64 v[56:57], v[56:57], v[124:125]
	v_mul_f64 v[124:125], v[36:37], s[52:53]
	v_add_f64 v[27:28], v[32:33], -v[28:29]
	v_mul_f64 v[32:33], v[36:37], s[46:47]
	v_add_f64 v[54:55], v[60:61], v[54:55]
	v_add_f64 v[60:61], v[66:67], v[126:127]
	v_fma_f64 v[36:37], v[38:39], s[22:23], -v[134:135]
	v_add_f64 v[66:67], v[132:133], v[121:122]
	v_fma_f64 v[121:122], v[38:39], s[22:23], v[134:135]
	v_fma_f64 v[126:127], v[38:39], s[12:13], -v[124:125]
	v_fma_f64 v[124:125], v[38:39], s[12:13], v[124:125]
	v_add_f64 v[29:30], v[30:31], v[34:35]
	v_mul_f64 v[34:35], v[27:28], s[14:15]
	v_fma_f64 v[132:133], v[38:39], s[16:17], -v[32:33]
	v_fma_f64 v[31:32], v[38:39], s[16:17], v[32:33]
	v_add_f64 v[36:37], v[36:37], v[52:53]
	v_add_f64 v[38:39], v[121:122], v[64:65]
	v_mul_f64 v[52:53], v[27:28], s[48:49]
	v_add_f64 v[64:65], v[126:127], v[128:129]
	v_add_f64 v[121:122], v[124:125], v[130:131]
	v_fma_f64 v[124:125], v[29:30], s[10:11], -v[34:35]
	v_mul_f64 v[126:127], v[27:28], s[46:47]
	v_add_f64 v[25:26], v[31:32], v[25:26]
	v_fma_f64 v[31:32], v[29:30], s[10:11], v[34:35]
	v_mul_f64 v[128:129], v[27:28], s[40:41]
	v_fma_f64 v[33:34], v[29:30], s[22:23], -v[52:53]
	v_fma_f64 v[52:53], v[29:30], s[22:23], v[52:53]
	v_add_f64 v[16:17], v[20:21], -v[16:17]
	v_add_f64 v[48:49], v[124:125], v[48:49]
	v_mul_f64 v[124:125], v[27:28], s[30:31]
	v_fma_f64 v[130:131], v[29:30], s[16:17], -v[126:127]
	v_fma_f64 v[126:127], v[29:30], s[16:17], v[126:127]
	v_add_f64 v[31:32], v[31:32], v[40:41]
	v_fma_f64 v[40:41], v[29:30], s[4:5], -v[128:129]
	v_add_f64 v[33:34], v[33:34], v[42:43]
	v_add_f64 v[42:43], v[52:53], v[58:59]
	v_fma_f64 v[52:53], v[29:30], s[4:5], v[128:129]
	v_fma_f64 v[58:59], v[29:30], s[26:27], -v[124:125]
	v_fma_f64 v[124:125], v[29:30], s[26:27], v[124:125]
	v_add_f64 v[46:47], v[126:127], v[46:47]
	v_mul_f64 v[126:127], v[27:28], s[50:51]
	v_add_f64 v[40:41], v[40:41], v[56:57]
	v_mul_f64 v[56:57], v[27:28], s[28:29]
	v_mul_f64 v[20:21], v[27:28], s[20:21]
	v_add_f64 v[52:53], v[52:53], v[54:55]
	v_add_f64 v[54:55], v[58:59], v[60:61]
	v_add_f64 v[58:59], v[124:125], v[66:67]
	v_add_f64 v[18:19], v[18:19], v[22:23]
	v_fma_f64 v[27:28], v[29:30], s[6:7], -v[126:127]
	v_fma_f64 v[60:61], v[29:30], s[6:7], v[126:127]
	v_fma_f64 v[66:67], v[29:30], s[18:19], -v[56:57]
	v_mul_f64 v[22:23], v[16:17], s[20:21]
	v_fma_f64 v[124:125], v[29:30], s[12:13], -v[20:21]
	v_fma_f64 v[20:21], v[29:30], s[12:13], v[20:21]
	v_fma_f64 v[56:57], v[29:30], s[18:19], v[56:57]
	v_add_f64 v[8:9], v[12:13], -v[8:9]
	v_add_f64 v[27:28], v[27:28], v[36:37]
	v_add_f64 v[29:30], v[60:61], v[38:39]
	;; [unrolled: 1-line block ×3, first 2 shown]
	v_mul_f64 v[37:38], v[16:17], s[42:43]
	v_fma_f64 v[60:61], v[18:19], s[12:13], -v[22:23]
	v_mul_f64 v[64:65], v[16:17], s[28:29]
	v_add_f64 v[20:21], v[20:21], v[25:26]
	v_fma_f64 v[22:23], v[18:19], s[12:13], v[22:23]
	v_mul_f64 v[25:26], v[16:17], s[24:25]
	v_add_f64 v[56:57], v[56:57], v[121:122]
	v_mul_f64 v[12:13], v[16:17], s[38:39]
	v_fma_f64 v[66:67], v[18:19], s[10:11], -v[37:38]
	v_fma_f64 v[37:38], v[18:19], s[10:11], v[37:38]
	v_add_f64 v[48:49], v[60:61], v[48:49]
	v_mul_f64 v[60:61], v[16:17], s[50:51]
	v_fma_f64 v[121:122], v[18:19], s[18:19], -v[64:65]
	v_fma_f64 v[64:65], v[18:19], s[18:19], v[64:65]
	v_add_f64 v[22:23], v[22:23], v[31:32]
	v_fma_f64 v[31:32], v[18:19], s[22:23], -v[25:26]
	v_fma_f64 v[25:26], v[18:19], s[22:23], v[25:26]
	v_add_f64 v[37:38], v[37:38], v[42:43]
	v_add_f64 v[62:63], v[138:139], v[62:63]
	v_fma_f64 v[42:43], v[18:19], s[6:7], -v[60:61]
	v_add_f64 v[10:11], v[10:11], v[14:15]
	v_add_f64 v[46:47], v[64:65], v[46:47]
	v_mul_f64 v[64:65], v[16:17], s[36:37]
	v_add_f64 v[31:32], v[31:32], v[40:41]
	v_fma_f64 v[39:40], v[18:19], s[6:7], v[60:61]
	v_mul_f64 v[60:61], v[16:17], s[30:31]
	v_add_f64 v[25:26], v[25:26], v[52:53]
	v_add_f64 v[41:42], v[42:43], v[54:55]
	v_mul_f64 v[14:15], v[8:9], s[24:25]
	v_add_f64 v[62:63], v[130:131], v[62:63]
	v_fma_f64 v[16:17], v[18:19], s[16:17], -v[64:65]
	v_fma_f64 v[52:53], v[18:19], s[16:17], v[64:65]
	v_add_f64 v[39:40], v[39:40], v[58:59]
	v_fma_f64 v[54:55], v[18:19], s[26:27], -v[60:61]
	v_fma_f64 v[58:59], v[18:19], s[26:27], v[60:61]
	v_fma_f64 v[60:61], v[18:19], s[4:5], -v[12:13]
	v_fma_f64 v[12:13], v[18:19], s[4:5], v[12:13]
	v_add_f64 v[50:51], v[184:185], v[170:171]
	v_add_f64 v[16:17], v[16:17], v[27:28]
	;; [unrolled: 1-line block ×3, first 2 shown]
	v_mul_f64 v[29:30], v[8:9], s[38:39]
	v_add_f64 v[18:19], v[54:55], v[35:36]
	v_fma_f64 v[52:53], v[10:11], s[22:23], -v[14:15]
	v_mul_f64 v[54:55], v[8:9], s[34:35]
	v_fma_f64 v[14:15], v[10:11], s[22:23], v[14:15]
	v_add_f64 v[12:13], v[12:13], v[20:21]
	v_mul_f64 v[20:21], v[8:9], s[52:53]
	v_add_f64 v[33:34], v[66:67], v[33:34]
	v_add_f64 v[62:63], v[121:122], v[62:63]
	;; [unrolled: 1-line block ×3, first 2 shown]
	v_fma_f64 v[56:57], v[10:11], s[4:5], -v[29:30]
	v_fma_f64 v[29:30], v[10:11], s[4:5], v[29:30]
	v_add_f64 v[48:49], v[52:53], v[48:49]
	v_mul_f64 v[52:53], v[8:9], s[28:29]
	v_fma_f64 v[58:59], v[10:11], s[6:7], -v[54:55]
	v_add_f64 v[50:51], v[140:141], v[50:51]
	v_add_f64 v[14:15], v[14:15], v[22:23]
	v_fma_f64 v[22:23], v[10:11], s[6:7], v[54:55]
	v_fma_f64 v[54:55], v[10:11], s[12:13], -v[20:21]
	v_add_f64 v[33:34], v[56:57], v[33:34]
	v_add_f64 v[37:38], v[29:30], v[37:38]
	v_fma_f64 v[20:21], v[10:11], s[12:13], v[20:21]
	v_fma_f64 v[29:30], v[10:11], s[18:19], -v[52:53]
	v_add_f64 v[56:57], v[58:59], v[62:63]
	v_mul_f64 v[58:59], v[8:9], s[30:31]
	v_add_f64 v[50:51], v[132:133], v[50:51]
	v_add_f64 v[22:23], v[22:23], v[46:47]
	;; [unrolled: 1-line block ×3, first 2 shown]
	v_fma_f64 v[31:32], v[10:11], s[18:19], v[52:53]
	v_mul_f64 v[52:53], v[8:9], s[46:47]
	v_add_f64 v[0:1], v[4:5], -v[0:1]
	v_add_f64 v[20:21], v[20:21], v[25:26]
	v_add_f64 v[25:26], v[29:30], v[41:42]
	v_fma_f64 v[4:5], v[10:11], s[26:27], -v[58:59]
	v_fma_f64 v[29:30], v[10:11], s[26:27], v[58:59]
	v_add_f64 v[50:51], v[124:125], v[50:51]
	v_mul_f64 v[8:9], v[8:9], s[14:15]
	v_add_f64 v[39:40], v[31:32], v[39:40]
	v_fma_f64 v[31:32], v[10:11], s[16:17], -v[52:53]
	v_add_f64 v[2:3], v[2:3], v[6:7]
	v_mul_f64 v[6:7], v[0:1], s[30:31]
	v_fma_f64 v[41:42], v[10:11], s[16:17], v[52:53]
	v_add_f64 v[4:5], v[4:5], v[16:17]
	v_add_f64 v[16:17], v[29:30], v[27:28]
	v_mul_f64 v[29:30], v[0:1], s[44:45]
	v_add_f64 v[50:51], v[60:61], v[50:51]
	v_fma_f64 v[27:28], v[10:11], s[10:11], -v[8:9]
	v_add_f64 v[18:19], v[31:32], v[18:19]
	v_fma_f64 v[8:9], v[10:11], s[10:11], v[8:9]
	v_fma_f64 v[10:11], v[2:3], s[26:27], -v[6:7]
	v_mul_f64 v[31:32], v[0:1], s[24:25]
	v_fma_f64 v[6:7], v[2:3], s[26:27], v[6:7]
	v_add_f64 v[41:42], v[41:42], v[35:36]
	v_fma_f64 v[35:36], v[2:3], s[18:19], -v[29:30]
	v_mul_f64 v[52:53], v[0:1], s[46:47]
	v_add_f64 v[50:51], v[27:28], v[50:51]
	v_fma_f64 v[54:55], v[2:3], s[18:19], v[29:30]
	v_add_f64 v[8:9], v[8:9], v[12:13]
	v_add_f64 v[10:11], v[10:11], v[48:49]
	;; [unrolled: 1-line block ×3, first 2 shown]
	v_fma_f64 v[6:7], v[2:3], s[22:23], v[31:32]
	v_fma_f64 v[12:13], v[2:3], s[22:23], -v[31:32]
	v_add_f64 v[14:15], v[35:36], v[33:34]
	v_fma_f64 v[32:33], v[2:3], s[16:17], -v[52:53]
	v_mul_f64 v[48:49], v[0:1], s[20:21]
	v_add_f64 v[30:31], v[54:55], v[37:38]
	v_fma_f64 v[34:35], v[2:3], s[16:17], v[52:53]
	v_mul_f64 v[52:53], v[0:1], s[38:39]
	v_add_f64 v[36:37], v[6:7], v[22:23]
	v_mul_f64 v[6:7], v[0:1], s[14:15]
	v_mul_f64 v[0:1], v[0:1], s[50:51]
	v_add_f64 v[22:23], v[32:33], v[46:47]
	v_fma_f64 v[32:33], v[2:3], s[12:13], -v[48:49]
	v_add_f64 v[12:13], v[12:13], v[56:57]
	v_add_f64 v[20:21], v[34:35], v[20:21]
	v_fma_f64 v[34:35], v[2:3], s[12:13], v[48:49]
	v_fma_f64 v[46:47], v[2:3], s[4:5], -v[52:53]
	v_fma_f64 v[48:49], v[2:3], s[4:5], v[52:53]
	v_fma_f64 v[52:53], v[2:3], s[10:11], -v[6:7]
	v_fma_f64 v[54:55], v[2:3], s[6:7], -v[0:1]
	v_fma_f64 v[0:1], v[2:3], s[6:7], v[0:1]
	v_fma_f64 v[6:7], v[2:3], s[10:11], v[6:7]
	v_add_f64 v[2:3], v[32:33], v[25:26]
	v_add_f64 v[25:26], v[34:35], v[39:40]
	;; [unrolled: 1-line block ×8, first 2 shown]
	s_waitcnt lgkmcnt(0)
	s_barrier
	ds_write2_b64 v115, v[44:45], v[10:11] offset1:1
	ds_write2_b64 v115, v[14:15], v[12:13] offset0:2 offset1:3
	ds_write2_b64 v115, v[22:23], v[2:3] offset0:4 offset1:5
	;; [unrolled: 1-line block ×7, first 2 shown]
	ds_write_b64 v115, v[28:29] offset:128
	s_waitcnt lgkmcnt(0)
	s_barrier
	ds_read2_b64 v[0:3], v123 offset1:119
	ds_read2_b64 v[24:27], v24 offset0:33 offset1:152
	ds_read2_b64 v[20:23], v116 offset0:66 offset1:185
	;; [unrolled: 1-line block ×6, first 2 shown]
                                        ; implicit-def: $vgpr32_vgpr33
                                        ; implicit-def: $vgpr34_vgpr35
                                        ; implicit-def: $vgpr38_vgpr39
                                        ; implicit-def: $vgpr42_vgpr43
	s_and_saveexec_b64 s[4:5], vcc
	s_cbranch_execz .LBB0_15
; %bb.14:
	ds_read_b64 v[36:37], v123 offset:1904
	ds_read_b64 v[30:31], v123 offset:4216
	;; [unrolled: 1-line block ×7, first 2 shown]
.LBB0_15:
	s_or_b64 exec, exec, s[4:5]
	s_movk_i32 s4, 0xf1
	v_mul_lo_u16_sdwa v41, v100, s4 dst_sel:DWORD dst_unused:UNUSED_PAD src0_sel:BYTE_0 src1_sel:DWORD
	v_lshrrev_b16_e32 v201, 12, v41
	v_mul_lo_u16_e32 v41, 17, v201
	v_sub_u16_e32 v202, v100, v41
	v_mov_b32_e32 v41, 6
	v_mul_u32_u24_sdwa v44, v202, v41 dst_sel:DWORD dst_unused:UNUSED_PAD src0_sel:BYTE_0 src1_sel:DWORD
	v_lshlrev_b32_e32 v64, 4, v44
	global_load_dwordx4 v[44:47], v64, s[8:9] offset:16
	global_load_dwordx4 v[48:51], v64, s[8:9]
	global_load_dwordx4 v[52:55], v64, s[8:9] offset:48
	global_load_dwordx4 v[56:59], v64, s[8:9] offset:32
	;; [unrolled: 1-line block ×4, first 2 shown]
	v_add_u16_e32 v64, 0x77, v100
	v_mul_lo_u16_sdwa v65, v64, s4 dst_sel:DWORD dst_unused:UNUSED_PAD src0_sel:BYTE_0 src1_sel:DWORD
	v_lshrrev_b16_e32 v203, 12, v65
	v_mul_lo_u16_e32 v65, 17, v203
	v_sub_u16_e32 v204, v64, v65
	v_mul_u32_u24_sdwa v41, v204, v41 dst_sel:DWORD dst_unused:UNUSED_PAD src0_sel:BYTE_0 src1_sel:DWORD
	v_add_u32_e32 v40, 0xee, v100
	v_lshlrev_b32_e32 v41, 4, v41
	s_mov_b32 s4, 0xf0f1
	global_load_dwordx4 v[125:128], v41, s[8:9] offset:16
	global_load_dwordx4 v[129:132], v41, s[8:9]
	global_load_dwordx4 v[133:136], v41, s[8:9] offset:48
	global_load_dwordx4 v[137:140], v41, s[8:9] offset:32
	;; [unrolled: 1-line block ×4, first 2 shown]
	v_mul_u32_u24_sdwa v41, v40, s4 dst_sel:DWORD dst_unused:UNUSED_PAD src0_sel:WORD_0 src1_sel:DWORD
	v_lshrrev_b32_e32 v124, 20, v41
	v_mul_lo_u16_e32 v41, 17, v124
	v_sub_u16_e32 v205, v40, v41
	v_mul_u32_u24_e32 v40, 6, v205
	v_lshlrev_b32_e32 v40, 4, v40
	global_load_dwordx4 v[149:152], v40, s[8:9]
	global_load_dwordx4 v[153:156], v40, s[8:9] offset:16
	global_load_dwordx4 v[157:160], v40, s[8:9] offset:32
	;; [unrolled: 1-line block ×5, first 2 shown]
	s_mov_b32 s6, 0x37e14327
	s_mov_b32 s4, 0x36b3c0b5
	;; [unrolled: 1-line block ×20, first 2 shown]
	s_waitcnt vmcnt(0) lgkmcnt(0)
	s_barrier
	v_mul_f64 v[66:67], v[20:21], v[46:47]
	v_mul_f64 v[40:41], v[24:25], v[50:51]
	;; [unrolled: 1-line block ×12, first 2 shown]
	v_fma_f64 v[64:65], v[72:73], v[48:49], v[40:41]
	v_fma_f64 v[66:67], v[76:77], v[44:45], v[66:67]
	;; [unrolled: 1-line block ×4, first 2 shown]
	v_mul_f64 v[50:51], v[72:73], v[50:51]
	v_mul_f64 v[193:194], v[30:31], v[151:152]
	v_mul_f64 v[151:152], v[105:106], v[151:152]
	v_mul_f64 v[131:132], v[74:75], v[131:132]
	v_mul_f64 v[183:184], v[22:23], v[127:128]
	v_mul_f64 v[185:186], v[18:19], v[139:140]
	v_mul_f64 v[187:188], v[14:15], v[135:136]
	v_mul_f64 v[189:190], v[10:11], v[147:148]
	v_mul_f64 v[195:196], v[28:29], v[155:156]
	v_mul_f64 v[155:156], v[103:104], v[155:156]
	v_fma_f64 v[117:118], v[20:21], v[44:45], -v[46:47]
	v_fma_f64 v[72:73], v[80:81], v[56:57], v[173:174]
	v_fma_f64 v[76:77], v[16:17], v[56:57], -v[58:59]
	v_fma_f64 v[80:81], v[84:85], v[52:53], v[175:176]
	v_fma_f64 v[84:85], v[12:13], v[52:53], -v[54:55]
	v_fma_f64 v[119:120], v[8:9], v[119:120], -v[121:122]
	v_fma_f64 v[8:9], v[74:75], v[129:130], v[181:182]
	v_fma_f64 v[46:47], v[30:31], v[149:150], -v[151:152]
	v_add_f64 v[30:31], v[64:65], v[92:93]
	v_add_f64 v[74:75], v[66:67], v[88:89]
	v_mul_f64 v[127:128], v[78:79], v[127:128]
	v_mul_f64 v[139:140], v[82:83], v[139:140]
	;; [unrolled: 1-line block ×4, first 2 shown]
	v_fma_f64 v[115:116], v[24:25], v[48:49], -v[50:51]
	v_fma_f64 v[121:122], v[4:5], v[60:61], -v[62:63]
	v_fma_f64 v[20:21], v[26:27], v[129:130], -v[131:132]
	v_fma_f64 v[12:13], v[78:79], v[125:126], v[183:184]
	v_fma_f64 v[16:17], v[82:83], v[137:138], v[185:186]
	;; [unrolled: 1-line block ×4, first 2 shown]
	v_fma_f64 v[48:49], v[28:29], v[153:154], -v[155:156]
	v_mul_f64 v[28:29], v[111:112], v[163:164]
	v_mul_f64 v[54:55], v[109:110], v[167:168]
	;; [unrolled: 1-line block ×3, first 2 shown]
	v_add_f64 v[78:79], v[117:118], -v[119:120]
	v_add_f64 v[82:83], v[72:73], v[80:81]
	v_add_f64 v[86:87], v[84:85], -v[76:77]
	v_add_f64 v[90:91], v[74:75], v[30:31]
	v_mul_f64 v[191:192], v[6:7], v[143:144]
	v_mul_f64 v[199:200], v[38:39], v[163:164]
	;; [unrolled: 1-line block ×4, first 2 shown]
	v_fma_f64 v[50:51], v[38:39], v[161:162], -v[28:29]
	v_fma_f64 v[54:55], v[34:35], v[165:166], -v[54:55]
	v_add_f64 v[28:29], v[115:116], -v[121:122]
	v_fma_f64 v[58:59], v[32:33], v[169:170], -v[58:59]
	v_add_f64 v[32:33], v[86:87], v[78:79]
	v_add_f64 v[34:35], v[82:83], v[90:91]
	v_add_f64 v[38:39], v[74:75], -v[30:31]
	v_add_f64 v[30:31], v[30:31], -v[82:83]
	;; [unrolled: 1-line block ×3, first 2 shown]
	v_fma_f64 v[60:61], v[94:95], v[141:142], v[191:192]
	v_add_f64 v[82:83], v[86:87], -v[78:79]
	v_add_f64 v[86:87], v[28:29], -v[86:87]
	;; [unrolled: 1-line block ×3, first 2 shown]
	v_add_f64 v[28:29], v[32:33], v[28:29]
	v_add_f64 v[32:33], v[68:69], v[34:35]
	v_mul_f64 v[30:31], v[30:31], s[6:7]
	v_mul_f64 v[68:69], v[74:75], s[4:5]
	;; [unrolled: 1-line block ×3, first 2 shown]
	v_fma_f64 v[22:23], v[22:23], v[125:126], -v[127:128]
	v_fma_f64 v[18:19], v[18:19], v[137:138], -v[139:140]
	v_fma_f64 v[14:15], v[14:15], v[133:134], -v[135:136]
	v_fma_f64 v[10:11], v[10:11], v[145:146], -v[147:148]
	v_mul_f64 v[82:83], v[82:83], s[12:13]
	v_mul_f64 v[90:91], v[78:79], s[10:11]
	v_fma_f64 v[34:35], v[34:35], s[14:15], v[32:33]
	v_fma_f64 v[74:75], v[74:75], s[4:5], v[30:31]
	v_fma_f64 v[68:69], v[38:39], s[16:17], -v[68:69]
	v_fma_f64 v[30:31], v[38:39], s[18:19], -v[30:31]
	v_add_f64 v[38:39], v[8:9], v[60:61]
	v_add_f64 v[94:95], v[12:13], v[26:27]
	v_fma_f64 v[62:63], v[6:7], v[141:142], -v[143:144]
	v_fma_f64 v[4:5], v[105:106], v[149:150], v[193:194]
	v_fma_f64 v[6:7], v[103:104], v[153:154], v[195:196]
	;; [unrolled: 1-line block ×3, first 2 shown]
	v_fma_f64 v[78:79], v[78:79], s[10:11], -v[82:83]
	v_fma_f64 v[82:83], v[86:87], s[22:23], -v[90:91]
	v_add_f64 v[74:75], v[74:75], v[34:35]
	v_add_f64 v[86:87], v[16:17], v[24:25]
	v_add_f64 v[90:91], v[94:95], v[38:39]
	v_add_f64 v[68:69], v[68:69], v[34:35]
	v_add_f64 v[30:31], v[30:31], v[34:35]
	v_add_f64 v[34:35], v[22:23], -v[10:11]
	v_add_f64 v[105:106], v[14:15], -v[18:19]
	v_mul_f64 v[197:198], v[42:43], v[159:160]
	v_fma_f64 v[56:57], v[107:108], v[169:170], v[56:57]
	v_add_f64 v[107:108], v[20:21], -v[62:63]
	v_fma_f64 v[44:45], v[111:112], v[161:162], v[199:200]
	v_fma_f64 v[52:53], v[109:110], v[165:166], v[52:53]
	v_add_f64 v[90:91], v[86:87], v[90:91]
	v_add_f64 v[109:110], v[38:39], -v[86:87]
	v_add_f64 v[86:87], v[86:87], -v[94:95]
	;; [unrolled: 1-line block ×3, first 2 shown]
	v_mul_f64 v[159:160], v[113:114], v[159:160]
	v_fma_f64 v[40:41], v[113:114], v[157:158], v[197:198]
	v_add_f64 v[113:114], v[34:35], -v[107:108]
	v_add_f64 v[38:39], v[94:95], -v[38:39]
	v_add_f64 v[34:35], v[105:106], v[34:35]
	v_add_f64 v[94:95], v[70:71], v[90:91]
	v_mul_f64 v[70:71], v[109:110], s[6:7]
	v_mul_f64 v[109:110], v[86:87], s[4:5]
	v_add_f64 v[105:106], v[107:108], -v[105:106]
	v_mul_f64 v[111:112], v[111:112], s[12:13]
	v_mul_f64 v[125:126], v[113:114], s[10:11]
	v_fma_f64 v[103:104], v[28:29], s[24:25], v[103:104]
	v_add_f64 v[34:35], v[34:35], v[107:108]
	v_fma_f64 v[90:91], v[90:91], s[14:15], v[94:95]
	v_fma_f64 v[86:87], v[86:87], s[4:5], v[70:71]
	v_fma_f64 v[107:108], v[38:39], s[16:17], -v[109:110]
	v_fma_f64 v[38:39], v[38:39], s[18:19], -v[70:71]
	v_fma_f64 v[70:71], v[105:106], s[20:21], v[111:112]
	v_fma_f64 v[105:106], v[105:106], s[22:23], -v[125:126]
	v_fma_f64 v[109:110], v[113:114], s[10:11], -v[111:112]
	v_fma_f64 v[78:79], v[28:29], s[24:25], v[78:79]
	v_fma_f64 v[28:29], v[28:29], s[24:25], v[82:83]
	v_add_f64 v[86:87], v[86:87], v[90:91]
	v_add_f64 v[107:108], v[107:108], v[90:91]
	;; [unrolled: 1-line block ×3, first 2 shown]
	v_fma_f64 v[70:71], v[34:35], s[24:25], v[70:71]
	v_fma_f64 v[90:91], v[34:35], s[24:25], v[105:106]
	;; [unrolled: 1-line block ×3, first 2 shown]
	v_add_f64 v[82:83], v[103:104], v[74:75]
	v_add_f64 v[105:106], v[28:29], v[30:31]
	v_add_f64 v[109:110], v[68:69], -v[78:79]
	v_fma_f64 v[42:43], v[42:43], v[157:158], -v[159:160]
	v_add_f64 v[78:79], v[78:79], v[68:69]
	v_add_f64 v[28:29], v[30:31], -v[28:29]
	v_add_f64 v[30:31], v[74:75], -v[103:104]
	v_add_f64 v[74:75], v[70:71], v[86:87]
	v_add_f64 v[103:104], v[90:91], v[38:39]
	v_add_f64 v[111:112], v[107:108], -v[34:35]
	v_add_f64 v[34:35], v[34:35], v[107:108]
	v_add_f64 v[38:39], v[38:39], -v[90:91]
	v_add_f64 v[86:87], v[86:87], -v[70:71]
	v_mov_b32_e32 v70, 3
	v_mul_u32_u24_e32 v68, 0x3b8, v201
	v_lshlrev_b32_sdwa v69, v70, v202 dst_sel:DWORD dst_unused:UNUSED_PAD src0_sel:DWORD src1_sel:BYTE_0
	v_add3_u32 v69, 0, v68, v69
	ds_write2_b64 v69, v[32:33], v[82:83] offset1:17
	ds_write2_b64 v69, v[105:106], v[109:110] offset0:34 offset1:51
	ds_write2_b64 v69, v[78:79], v[28:29] offset0:68 offset1:85
	ds_write_b64 v69, v[30:31] offset:816
	v_mul_u32_u24_e32 v28, 0x3b8, v203
	v_lshlrev_b32_sdwa v29, v70, v204 dst_sel:DWORD dst_unused:UNUSED_PAD src0_sel:DWORD src1_sel:BYTE_0
	v_add3_u32 v70, 0, v28, v29
	v_lshlrev_b32_e32 v68, 3, v205
	ds_write2_b64 v70, v[94:95], v[74:75] offset1:17
	ds_write2_b64 v70, v[103:104], v[111:112] offset0:34 offset1:51
	ds_write2_b64 v70, v[34:35], v[38:39] offset0:68 offset1:85
	ds_write_b64 v70, v[86:87] offset:816
	s_and_saveexec_b64 s[26:27], vcc
	s_cbranch_execz .LBB0_17
; %bb.16:
	v_add_f64 v[28:29], v[6:7], v[52:53]
	v_add_f64 v[30:31], v[4:5], v[56:57]
	v_add_f64 v[32:33], v[50:51], -v[42:43]
	v_add_f64 v[34:35], v[48:49], -v[54:55]
	v_add_f64 v[38:39], v[40:41], v[44:45]
	v_add_f64 v[74:75], v[46:47], -v[58:59]
	v_add_f64 v[78:79], v[28:29], v[30:31]
	v_add_f64 v[82:83], v[32:33], -v[34:35]
	v_add_f64 v[86:87], v[30:31], -v[38:39]
	;; [unrolled: 1-line block ×4, first 2 shown]
	v_add_f64 v[34:35], v[32:33], v[34:35]
	v_add_f64 v[32:33], v[74:75], -v[32:33]
	v_add_f64 v[38:39], v[38:39], v[78:79]
	v_add_f64 v[28:29], v[28:29], -v[30:31]
	v_mul_f64 v[30:31], v[82:83], s[12:13]
	v_mul_f64 v[78:79], v[86:87], s[6:7]
	;; [unrolled: 1-line block ×3, first 2 shown]
	v_add_f64 v[34:35], v[34:35], v[74:75]
	v_add_f64 v[86:87], v[101:102], v[38:39]
	v_mul_f64 v[101:102], v[94:95], s[4:5]
	v_fma_f64 v[74:75], v[32:33], s[20:21], v[30:31]
	v_fma_f64 v[103:104], v[28:29], s[18:19], -v[78:79]
	v_fma_f64 v[32:33], v[32:33], s[22:23], -v[82:83]
	v_fma_f64 v[30:31], v[90:91], s[10:11], -v[30:31]
	v_fma_f64 v[78:79], v[94:95], s[4:5], v[78:79]
	v_fma_f64 v[38:39], v[38:39], s[14:15], v[86:87]
	v_fma_f64 v[28:29], v[28:29], s[16:17], -v[101:102]
	v_fma_f64 v[74:75], v[34:35], s[24:25], v[74:75]
	v_fma_f64 v[32:33], v[34:35], s[24:25], v[32:33]
	v_fma_f64 v[30:31], v[34:35], s[24:25], v[30:31]
	v_add_f64 v[34:35], v[103:104], v[38:39]
	v_add_f64 v[28:29], v[28:29], v[38:39]
	;; [unrolled: 1-line block ×3, first 2 shown]
	v_add_f64 v[78:79], v[34:35], -v[32:33]
	v_add_f64 v[82:83], v[28:29], -v[30:31]
	v_add_f64 v[90:91], v[74:75], v[38:39]
	v_add_f64 v[32:33], v[32:33], v[34:35]
	;; [unrolled: 1-line block ×3, first 2 shown]
	v_add_f64 v[30:31], v[38:39], -v[74:75]
	v_mul_lo_u16_e32 v34, 0x77, v124
	v_lshlrev_b32_e32 v34, 3, v34
	v_add3_u32 v34, 0, v68, v34
	ds_write2_b64 v34, v[86:87], v[90:91] offset1:17
	ds_write2_b64 v34, v[32:33], v[82:83] offset0:34 offset1:51
	ds_write2_b64 v34, v[28:29], v[78:79] offset0:68 offset1:85
	ds_write_b64 v34, v[30:31] offset:816
.LBB0_17:
	s_or_b64 exec, exec, s[26:27]
	v_add_f64 v[28:29], v[115:116], v[121:122]
	v_add_f64 v[30:31], v[117:118], v[119:120]
	v_add_f64 v[32:33], v[64:65], -v[92:93]
	v_add_f64 v[34:35], v[66:67], -v[88:89]
	v_add_f64 v[38:39], v[76:77], v[84:85]
	v_add_f64 v[64:65], v[80:81], -v[72:73]
	v_add_f64 v[10:11], v[22:23], v[10:11]
	;; [unrolled: 2-line block ×3, first 2 shown]
	v_add_f64 v[66:67], v[30:31], v[28:29]
	v_add_f64 v[16:17], v[24:25], -v[16:17]
	v_add_f64 v[26:27], v[30:31], -v[28:29]
	;; [unrolled: 1-line block ×5, first 2 shown]
	v_add_f64 v[20:21], v[20:21], v[62:63]
	v_add_f64 v[8:9], v[8:9], -v[60:61]
	v_add_f64 v[22:23], v[38:39], v[66:67]
	v_add_f64 v[30:31], v[64:65], v[34:35]
	v_add_f64 v[38:39], v[32:33], -v[64:65]
	v_mul_f64 v[18:19], v[18:19], s[6:7]
	v_add_f64 v[34:35], v[34:35], -v[32:33]
	v_mul_f64 v[28:29], v[28:29], s[12:13]
	v_add_f64 v[63:64], v[10:11], v[20:21]
	v_add_f64 v[65:66], v[20:21], -v[14:15]
	v_add_f64 v[61:62], v[0:1], v[22:23]
	v_mul_f64 v[0:1], v[24:25], s[4:5]
	v_add_f64 v[30:31], v[30:31], v[32:33]
	v_fma_f64 v[24:25], v[24:25], s[4:5], v[18:19]
	v_fma_f64 v[18:19], v[26:27], s[18:19], -v[18:19]
	v_mul_f64 v[32:33], v[34:35], s[10:11]
	v_add_f64 v[71:72], v[14:15], -v[10:11]
	v_add_f64 v[14:15], v[14:15], v[63:64]
	v_fma_f64 v[22:23], v[22:23], s[14:15], v[61:62]
	v_fma_f64 v[0:1], v[26:27], s[16:17], -v[0:1]
	v_fma_f64 v[26:27], v[38:39], s[20:21], v[28:29]
	v_fma_f64 v[28:29], v[34:35], s[10:11], -v[28:29]
	v_add_f64 v[34:35], v[12:13], -v[8:9]
	v_fma_f64 v[32:33], v[38:39], s[22:23], -v[32:33]
	v_add_f64 v[10:11], v[10:11], -v[20:21]
	v_add_f64 v[63:64], v[2:3], v[14:15]
	v_add_f64 v[24:25], v[24:25], v[22:23]
	;; [unrolled: 1-line block ×4, first 2 shown]
	v_fma_f64 v[22:23], v[30:31], s[24:25], v[26:27]
	v_add_f64 v[26:27], v[16:17], -v[12:13]
	v_add_f64 v[12:13], v[16:17], v[12:13]
	v_mul_f64 v[2:3], v[65:66], s[6:7]
	v_mul_f64 v[20:21], v[71:72], s[4:5]
	v_add_f64 v[16:17], v[8:9], -v[16:17]
	v_mul_f64 v[38:39], v[34:35], s[10:11]
	v_fma_f64 v[28:29], v[30:31], s[24:25], v[28:29]
	v_fma_f64 v[30:31], v[30:31], s[24:25], v[32:33]
	v_mul_f64 v[26:27], v[26:27], s[12:13]
	v_add_f64 v[8:9], v[12:13], v[8:9]
	v_fma_f64 v[12:13], v[14:15], s[14:15], v[63:64]
	v_fma_f64 v[14:15], v[71:72], s[4:5], v[2:3]
	v_fma_f64 v[20:21], v[10:11], s[16:17], -v[20:21]
	v_fma_f64 v[2:3], v[10:11], s[18:19], -v[2:3]
	s_waitcnt lgkmcnt(0)
	v_add_f64 v[71:72], v[18:19], -v[30:31]
	v_fma_f64 v[10:11], v[16:17], s[20:21], v[26:27]
	v_fma_f64 v[16:17], v[16:17], s[22:23], -v[38:39]
	v_fma_f64 v[26:27], v[34:35], s[10:11], -v[26:27]
	v_add_f64 v[14:15], v[14:15], v[12:13]
	v_add_f64 v[20:21], v[20:21], v[12:13]
	v_add_f64 v[2:3], v[2:3], v[12:13]
	v_add_f64 v[77:78], v[30:31], v[18:19]
	s_barrier
	v_fma_f64 v[10:11], v[8:9], s[24:25], v[10:11]
	v_fma_f64 v[12:13], v[8:9], s[24:25], v[16:17]
	;; [unrolled: 1-line block ×3, first 2 shown]
	v_add_f64 v[65:66], v[24:25], -v[22:23]
	v_add_f64 v[79:80], v[22:23], v[24:25]
	v_add_f64 v[73:74], v[28:29], v[0:1]
	v_add_f64 v[75:76], v[0:1], -v[28:29]
	v_lshl_add_u32 v60, v100, 3, 0
	v_add_f64 v[83:84], v[2:3], -v[12:13]
	v_add_f64 v[85:86], v[8:9], v[20:21]
	v_add_f64 v[87:88], v[20:21], -v[8:9]
	v_add_u32_e32 v8, 0x800, v123
	ds_read2_b64 v[16:19], v8 offset0:101 offset1:220
	v_add_u32_e32 v8, 0x1000, v123
	ds_read2_b64 v[20:23], v8 offset0:83 offset1:202
	;; [unrolled: 2-line block ×4, first 2 shown]
	v_add_u32_e32 v8, 0x2800, v123
	v_add_f64 v[89:90], v[12:13], v[2:3]
	ds_read2_b64 v[24:27], v8 offset0:29 offset1:148
	v_add_u32_e32 v8, 0x3000, v123
	v_add_u32_e32 v12, 0x3400, v123
	v_add_f64 v[81:82], v[14:15], -v[10:11]
	v_add_f64 v[91:92], v[10:11], v[14:15]
	ds_read2_b64 v[0:3], v123 offset1:119
	ds_read_b64 v[38:39], v60 offset:1904
	ds_read2_b64 v[8:11], v8 offset0:11 offset1:130
	ds_read2_b64 v[12:15], v12 offset0:121 offset1:240
	s_waitcnt lgkmcnt(0)
	s_barrier
	ds_write2_b64 v69, v[61:62], v[65:66] offset1:17
	ds_write2_b64 v69, v[71:72], v[73:74] offset0:34 offset1:51
	ds_write2_b64 v69, v[75:76], v[77:78] offset0:68 offset1:85
	ds_write_b64 v69, v[79:80] offset:816
	ds_write2_b64 v70, v[63:64], v[81:82] offset1:17
	ds_write2_b64 v70, v[83:84], v[85:86] offset0:34 offset1:51
	ds_write2_b64 v70, v[87:88], v[89:90] offset0:68 offset1:85
	ds_write_b64 v70, v[91:92] offset:816
	s_and_saveexec_b64 s[4:5], vcc
	s_cbranch_execz .LBB0_19
; %bb.18:
	v_add_f64 v[46:47], v[46:47], v[58:59]
	v_add_f64 v[48:49], v[48:49], v[54:55]
	v_add_f64 v[42:43], v[42:43], v[50:51]
	v_add_f64 v[40:41], v[44:45], -v[40:41]
	v_add_f64 v[6:7], v[6:7], -v[52:53]
	;; [unrolled: 1-line block ×3, first 2 shown]
	s_mov_b32 s10, 0x36b3c0b5
	s_mov_b32 s11, 0x3fac98ee
	;; [unrolled: 1-line block ×3, first 2 shown]
	v_add_f64 v[44:45], v[48:49], v[46:47]
	v_add_f64 v[50:51], v[46:47], -v[42:43]
	v_add_f64 v[46:47], v[48:49], -v[46:47]
	v_add_f64 v[52:53], v[40:41], v[6:7]
	v_add_f64 v[54:55], v[40:41], -v[6:7]
	v_add_f64 v[6:7], v[6:7], -v[4:5]
	s_mov_b32 s15, 0xbfebfeb5
	v_add_f64 v[40:41], v[4:5], -v[40:41]
	v_add_f64 v[44:45], v[42:43], v[44:45]
	v_add_f64 v[42:43], v[42:43], -v[48:49]
	v_mul_f64 v[50:51], v[50:51], s[6:7]
	v_add_f64 v[4:5], v[52:53], v[4:5]
	v_mul_f64 v[52:53], v[54:55], s[12:13]
	v_mul_f64 v[54:55], v[6:7], s[14:15]
	s_mov_b32 s7, 0x3fe77f67
	s_mov_b32 s6, 0x5476071b
	v_add_f64 v[36:37], v[36:37], v[44:45]
	v_mul_f64 v[48:49], v[42:43], s[10:11]
	s_mov_b32 s16, 0xaaaaaaaa
	s_mov_b32 s17, 0xbff2aaaa
	v_fma_f64 v[42:43], v[42:43], s[10:11], v[50:51]
	v_fma_f64 v[6:7], v[6:7], s[14:15], -v[52:53]
	v_fma_f64 v[44:45], v[44:45], s[16:17], v[36:37]
	v_fma_f64 v[48:49], v[46:47], s[6:7], -v[48:49]
	s_mov_b32 s7, 0xbfe77f67
	v_fma_f64 v[46:47], v[46:47], s[6:7], -v[50:51]
	s_mov_b32 s7, 0xbfd5d0dc
	s_mov_b32 s6, 0xb247c609
	v_fma_f64 v[50:51], v[40:41], s[6:7], v[52:53]
	s_mov_b32 s7, 0x3fd5d0dc
	v_fma_f64 v[40:41], v[40:41], s[6:7], -v[54:55]
	s_mov_b32 s6, 0x37c3f68c
	s_mov_b32 s7, 0xbfdc38aa
	v_add_f64 v[42:43], v[42:43], v[44:45]
	v_add_f64 v[48:49], v[48:49], v[44:45]
	;; [unrolled: 1-line block ×3, first 2 shown]
	v_fma_f64 v[46:47], v[4:5], s[6:7], v[50:51]
	v_fma_f64 v[40:41], v[4:5], s[6:7], v[40:41]
	;; [unrolled: 1-line block ×3, first 2 shown]
	v_add_f64 v[6:7], v[42:43], -v[46:47]
	v_add_f64 v[42:43], v[46:47], v[42:43]
	v_add_f64 v[50:51], v[44:45], -v[40:41]
	v_add_f64 v[52:53], v[4:5], v[48:49]
	;; [unrolled: 2-line block ×3, first 2 shown]
	v_mul_lo_u16_e32 v44, 0x77, v124
	v_lshlrev_b32_e32 v44, 3, v44
	v_add3_u32 v44, 0, v68, v44
	ds_write2_b64 v44, v[36:37], v[6:7] offset1:17
	ds_write2_b64 v44, v[50:51], v[52:53] offset0:34 offset1:51
	ds_write2_b64 v44, v[4:5], v[40:41] offset0:68 offset1:85
	ds_write_b64 v44, v[42:43] offset:816
.LBB0_19:
	s_or_b64 exec, exec, s[4:5]
	s_waitcnt lgkmcnt(0)
	s_barrier
	s_and_saveexec_b64 s[4:5], s[0:1]
	s_cbranch_execz .LBB0_21
; %bb.20:
	v_lshlrev_b32_e32 v4, 4, v100
	v_mov_b32_e32 v5, 0
	v_lshlrev_b64 v[4:5], 4, v[4:5]
	v_mov_b32_e32 v6, s9
	v_add_co_u32_e32 v4, vcc, s8, v4
	v_addc_co_u32_e32 v5, vcc, v6, v5, vcc
	global_load_dwordx4 v[40:43], v[4:5], off offset:1744
	global_load_dwordx4 v[44:47], v[4:5], off offset:1760
	;; [unrolled: 1-line block ×16, first 2 shown]
	v_add_u32_e32 v61, 0x1800, v123
	v_add_u32_e32 v64, 0x2000, v123
	;; [unrolled: 1-line block ×6, first 2 shown]
	ds_read_b64 v[36:37], v60 offset:1904
	v_add_u32_e32 v72, 0x3400, v123
	ds_read2_b64 v[4:7], v123 offset1:119
	ds_read2_b64 v[60:63], v61 offset0:65 offset1:184
	ds_read2_b64 v[64:67], v64 offset0:47 offset1:166
	ds_read2_b64 v[114:117], v68 offset0:83 offset1:202
	ds_read2_b64 v[122:125], v69 offset0:29 offset1:148
	ds_read2_b64 v[148:151], v70 offset0:101 offset1:220
	ds_read2_b64 v[152:155], v71 offset0:11 offset1:130
	ds_read2_b64 v[156:159], v72 offset0:121 offset1:240
	s_mov_b32 s10, 0xacd6c6b4
	s_mov_b32 s11, 0xbfc7851a
	;; [unrolled: 1-line block ×45, first 2 shown]
	s_movk_i32 s51, 0x1000
	s_movk_i32 s33, 0x2000
	;; [unrolled: 1-line block ×3, first 2 shown]
	s_waitcnt vmcnt(15)
	v_mul_f64 v[68:69], v[30:31], v[40:41]
	v_mul_f64 v[30:31], v[30:31], v[42:43]
	s_waitcnt vmcnt(13)
	v_mul_f64 v[74:75], v[28:29], v[48:49]
	s_waitcnt vmcnt(12)
	v_mul_f64 v[80:81], v[34:35], v[52:53]
	v_mul_f64 v[28:29], v[28:29], v[50:51]
	s_waitcnt vmcnt(11)
	v_mul_f64 v[82:83], v[22:23], v[56:57]
	s_waitcnt vmcnt(10)
	v_mul_f64 v[84:85], v[24:25], v[86:87]
	v_mul_f64 v[24:25], v[24:25], v[88:89]
	v_mul_f64 v[22:23], v[22:23], v[58:59]
	s_waitcnt vmcnt(9)
	v_mul_f64 v[94:95], v[20:21], v[90:91]
	s_waitcnt vmcnt(8)
	v_mul_f64 v[108:109], v[26:27], v[100:101]
	;; [unrolled: 6-line block ×3, first 2 shown]
	s_waitcnt vmcnt(0)
	v_mul_f64 v[172:173], v[14:15], v[144:145]
	v_mul_f64 v[168:169], v[38:39], v[128:129]
	;; [unrolled: 1-line block ×5, first 2 shown]
	s_waitcnt lgkmcnt(6)
	v_fma_f64 v[72:73], v[62:63], v[42:43], v[68:69]
	v_fma_f64 v[76:77], v[62:63], v[40:41], -v[30:31]
	v_fma_f64 v[78:79], v[60:61], v[50:51], v[74:75]
	s_waitcnt lgkmcnt(5)
	v_fma_f64 v[62:63], v[66:67], v[54:55], v[80:81]
	v_fma_f64 v[80:81], v[60:61], v[48:49], -v[28:29]
	s_waitcnt lgkmcnt(4)
	v_fma_f64 v[82:83], v[116:117], v[58:59], v[82:83]
	s_waitcnt lgkmcnt(3)
	v_fma_f64 v[58:59], v[122:123], v[88:89], v[84:85]
	v_fma_f64 v[60:61], v[122:123], v[86:87], -v[24:25]
	v_fma_f64 v[122:123], v[6:7], v[142:143], v[166:167]
	s_waitcnt lgkmcnt(0)
	v_fma_f64 v[2:3], v[158:159], v[146:147], v[172:173]
	v_mul_f64 v[70:71], v[32:33], v[44:45]
	v_mul_f64 v[32:33], v[32:33], v[46:47]
	;; [unrolled: 1-line block ×7, first 2 shown]
	v_fma_f64 v[84:85], v[116:117], v[56:57], -v[22:23]
	v_fma_f64 v[88:89], v[114:115], v[90:91], -v[20:21]
	;; [unrolled: 1-line block ×3, first 2 shown]
	v_fma_f64 v[100:101], v[150:151], v[106:107], v[126:127]
	v_fma_f64 v[126:127], v[36:37], v[130:131], v[168:169]
	;; [unrolled: 1-line block ×3, first 2 shown]
	v_mul_f64 v[20:21], v[38:39], v[130:131]
	v_mul_f64 v[12:13], v[12:13], v[138:139]
	v_add_f64 v[170:171], v[122:123], -v[2:3]
	v_fma_f64 v[130:131], v[6:7], v[140:141], -v[174:175]
	v_fma_f64 v[48:49], v[158:159], v[144:145], -v[14:15]
	v_mul_f64 v[16:17], v[16:17], v[120:121]
	v_fma_f64 v[68:69], v[64:65], v[46:47], v[70:71]
	v_fma_f64 v[70:71], v[64:65], v[44:45], -v[32:33]
	v_fma_f64 v[66:67], v[66:67], v[52:53], -v[34:35]
	v_fma_f64 v[86:87], v[114:115], v[92:93], v[94:95]
	v_fma_f64 v[52:53], v[152:153], v[110:111], -v[8:9]
	v_fma_f64 v[114:115], v[148:149], v[120:121], v[162:163]
	v_fma_f64 v[42:43], v[154:155], v[134:135], v[164:165]
	v_mul_f64 v[6:7], v[10:11], v[134:135]
	v_add_f64 v[168:169], v[126:127], -v[50:51]
	v_fma_f64 v[128:129], v[36:37], v[128:129], -v[20:21]
	v_fma_f64 v[64:65], v[156:157], v[136:137], -v[12:13]
	v_mul_f64 v[10:11], v[170:171], s[10:11]
	v_add_f64 v[110:111], v[130:131], v[48:49]
	v_mul_f64 v[18:19], v[18:19], v[106:107]
	v_fma_f64 v[54:55], v[124:125], v[102:103], v[108:109]
	v_fma_f64 v[46:47], v[152:153], v[112:113], v[160:161]
	v_add_f64 v[166:167], v[114:115], -v[42:43]
	v_fma_f64 v[120:121], v[148:149], v[118:119], -v[16:17]
	v_fma_f64 v[74:75], v[154:155], v[132:133], -v[6:7]
	v_mul_f64 v[6:7], v[168:169], s[28:29]
	v_add_f64 v[102:103], v[128:129], v[64:65]
	v_fma_f64 v[12:13], v[110:111], s[6:7], v[10:11]
	v_fma_f64 v[108:109], v[150:151], v[104:105], -v[18:19]
	v_add_f64 v[164:165], v[100:101], -v[46:47]
	v_mul_f64 v[14:15], v[166:167], s[16:17]
	v_add_f64 v[124:125], v[86:87], -v[54:55]
	v_add_f64 v[104:105], v[120:121], v[74:75]
	v_add_f64 v[116:117], v[82:83], -v[58:59]
	v_fma_f64 v[16:17], v[102:103], s[12:13], v[6:7]
	v_add_f64 v[12:13], v[4:5], v[12:13]
	v_add_f64 v[94:95], v[108:109], v[52:53]
	v_mul_f64 v[20:21], v[164:165], s[38:39]
	v_add_f64 v[92:93], v[88:89], v[56:57]
	v_add_f64 v[142:143], v[130:131], -v[48:49]
	v_fma_f64 v[22:23], v[104:105], s[8:9], v[14:15]
	v_add_f64 v[90:91], v[84:85], v[60:61]
	v_add_f64 v[138:139], v[128:129], -v[64:65]
	v_add_f64 v[12:13], v[16:17], v[12:13]
	v_mul_f64 v[16:17], v[124:125], s[20:21]
	v_fma_f64 v[24:25], v[94:95], s[14:15], v[20:21]
	v_add_f64 v[136:137], v[122:123], v[2:3]
	v_add_f64 v[140:141], v[120:121], -v[74:75]
	v_add_f64 v[134:135], v[126:127], v[50:51]
	v_add_f64 v[146:147], v[108:109], -v[52:53]
	v_add_f64 v[132:133], v[114:115], v[42:43]
	v_add_f64 v[12:13], v[22:23], v[12:13]
	v_mul_f64 v[22:23], v[116:117], s[34:35]
	v_fma_f64 v[26:27], v[92:93], s[18:19], v[16:17]
	v_add_f64 v[148:149], v[88:89], -v[56:57]
	v_fma_f64 v[10:11], v[110:111], s[6:7], -v[10:11]
	v_add_f64 v[144:145], v[100:101], v[46:47]
	v_mul_f64 v[36:37], v[146:147], s[38:39]
	v_add_f64 v[162:163], v[84:85], -v[60:61]
	v_add_f64 v[12:13], v[24:25], v[12:13]
	v_mul_f64 v[24:25], v[142:143], s[10:11]
	v_fma_f64 v[28:29], v[90:91], s[24:25], v[22:23]
	v_fma_f64 v[6:7], v[102:103], s[12:13], -v[6:7]
	v_add_f64 v[10:11], v[4:5], v[10:11]
	v_add_f64 v[160:161], v[86:87], v[54:55]
	v_fma_f64 v[40:41], v[144:145], s[14:15], -v[36:37]
	v_add_f64 v[158:159], v[82:83], v[58:59]
	v_add_f64 v[12:13], v[26:27], v[12:13]
	v_mul_f64 v[26:27], v[138:139], s[28:29]
	v_fma_f64 v[30:31], v[136:137], s[6:7], -v[24:25]
	v_fma_f64 v[24:25], v[136:137], s[6:7], v[24:25]
	v_add_f64 v[6:7], v[6:7], v[10:11]
	v_mul_f64 v[10:11], v[162:163], s[34:35]
	v_add_f64 v[112:113], v[78:79], -v[62:63]
	v_add_f64 v[152:153], v[80:81], -v[66:67]
	v_add_f64 v[12:13], v[28:29], v[12:13]
	v_mul_f64 v[28:29], v[140:141], s[16:17]
	v_fma_f64 v[34:35], v[134:135], s[12:13], -v[26:27]
	v_add_f64 v[30:31], v[0:1], v[30:31]
	v_fma_f64 v[26:27], v[134:135], s[12:13], v[26:27]
	v_add_f64 v[24:25], v[0:1], v[24:25]
	v_fma_f64 v[14:15], v[104:105], s[8:9], -v[14:15]
	v_fma_f64 v[36:37], v[144:145], s[14:15], v[36:37]
	v_mul_f64 v[8:9], v[112:113], s[4:5]
	v_fma_f64 v[38:39], v[132:133], s[8:9], -v[28:29]
	v_fma_f64 v[28:29], v[132:133], s[8:9], v[28:29]
	v_add_f64 v[30:31], v[34:35], v[30:31]
	v_mul_f64 v[34:35], v[148:149], s[20:21]
	v_add_f64 v[24:25], v[26:27], v[24:25]
	v_fma_f64 v[26:27], v[158:159], s[24:25], -v[10:11]
	v_add_f64 v[118:119], v[80:81], v[66:67]
	v_add_f64 v[150:151], v[76:77], -v[70:71]
	v_fma_f64 v[20:21], v[94:95], s[14:15], -v[20:21]
	v_add_f64 v[6:7], v[14:15], v[6:7]
	v_add_f64 v[30:31], v[38:39], v[30:31]
	v_fma_f64 v[38:39], v[160:161], s[18:19], -v[34:35]
	v_add_f64 v[24:25], v[28:29], v[24:25]
	v_add_f64 v[156:157], v[78:79], v[62:63]
	v_mul_f64 v[14:15], v[152:153], s[4:5]
	v_fma_f64 v[32:33], v[118:119], s[22:23], v[8:9]
	v_fma_f64 v[16:17], v[92:93], s[18:19], -v[16:17]
	v_add_f64 v[6:7], v[20:21], v[6:7]
	v_add_f64 v[30:31], v[40:41], v[30:31]
	;; [unrolled: 1-line block ×4, first 2 shown]
	v_mul_f64 v[20:21], v[150:151], s[40:41]
	v_fma_f64 v[28:29], v[156:157], s[22:23], -v[14:15]
	v_fma_f64 v[10:11], v[158:159], s[24:25], v[10:11]
	v_fma_f64 v[22:23], v[90:91], s[24:25], -v[22:23]
	v_add_f64 v[6:7], v[16:17], v[6:7]
	v_add_f64 v[30:31], v[38:39], v[30:31]
	;; [unrolled: 1-line block ×3, first 2 shown]
	v_fma_f64 v[14:15], v[156:157], s[22:23], v[14:15]
	v_fma_f64 v[32:33], v[154:155], s[0:1], -v[20:21]
	v_mul_f64 v[36:37], v[168:169], s[34:35]
	v_mul_f64 v[172:173], v[138:139], s[34:35]
	v_add_f64 v[106:107], v[72:73], -v[68:69]
	v_add_f64 v[22:23], v[22:23], v[6:7]
	v_add_f64 v[26:27], v[26:27], v[30:31]
	v_fma_f64 v[30:31], v[160:161], s[18:19], v[34:35]
	v_mul_f64 v[176:177], v[166:167], s[30:31]
	v_mul_f64 v[180:181], v[140:141], s[30:31]
	v_fma_f64 v[178:179], v[102:103], s[24:25], v[36:37]
	v_fma_f64 v[182:183], v[134:135], s[24:25], -v[172:173]
	v_add_f64 v[44:45], v[76:77], v[70:71]
	v_mul_f64 v[18:19], v[106:107], s[40:41]
	v_add_f64 v[26:27], v[28:29], v[26:27]
	v_add_f64 v[24:25], v[30:31], v[24:25]
	v_mul_f64 v[40:41], v[164:165], s[46:47]
	v_fma_f64 v[186:187], v[104:105], s[0:1], v[176:177]
	v_fma_f64 v[188:189], v[132:133], s[0:1], -v[180:181]
	v_fma_f64 v[36:37], v[102:103], s[24:25], -v[36:37]
	v_fma_f64 v[172:173], v[134:135], s[24:25], v[172:173]
	v_fma_f64 v[16:17], v[44:45], s[0:1], v[18:19]
	v_add_f64 v[6:7], v[32:33], v[26:27]
	v_add_f64 v[10:11], v[10:11], v[24:25]
	v_mul_f64 v[32:33], v[142:143], s[16:17]
	v_fma_f64 v[28:29], v[118:119], s[22:23], -v[8:9]
	v_mul_f64 v[24:25], v[124:125], s[26:27]
	v_fma_f64 v[184:185], v[94:95], s[18:19], v[40:41]
	v_fma_f64 v[176:177], v[104:105], s[0:1], -v[176:177]
	v_add_f64 v[8:9], v[16:17], v[12:13]
	v_fma_f64 v[40:41], v[94:95], s[18:19], -v[40:41]
	v_add_f64 v[10:11], v[14:15], v[10:11]
	v_mul_f64 v[14:15], v[170:171], s[16:17]
	v_fma_f64 v[174:175], v[136:137], s[8:9], -v[32:33]
	v_fma_f64 v[32:33], v[136:137], s[8:9], v[32:33]
	v_add_f64 v[16:17], v[28:29], v[22:23]
	v_mul_f64 v[22:23], v[116:117], s[10:11]
	v_fma_f64 v[34:35], v[92:93], s[12:13], v[24:25]
	v_fma_f64 v[12:13], v[44:45], s[0:1], -v[18:19]
	v_mul_f64 v[18:19], v[112:113], s[38:39]
	v_fma_f64 v[38:39], v[110:111], s[8:9], v[14:15]
	v_add_f64 v[174:175], v[0:1], v[174:175]
	v_fma_f64 v[14:15], v[110:111], s[8:9], -v[14:15]
	v_add_f64 v[32:33], v[0:1], v[32:33]
	v_fma_f64 v[30:31], v[90:91], s[6:7], v[22:23]
	v_fma_f64 v[24:25], v[92:93], s[12:13], -v[24:25]
	v_fma_f64 v[20:21], v[154:155], s[0:1], v[20:21]
	v_fma_f64 v[28:29], v[118:119], s[14:15], v[18:19]
	v_add_f64 v[38:39], v[4:5], v[38:39]
	v_add_f64 v[174:175], v[182:183], v[174:175]
	;; [unrolled: 1-line block ×3, first 2 shown]
	v_mul_f64 v[182:183], v[148:149], s[26:27]
	v_add_f64 v[32:33], v[172:173], v[32:33]
	v_mul_f64 v[172:173], v[162:163], s[10:11]
	v_mul_f64 v[26:27], v[106:107], s[4:5]
	v_fma_f64 v[22:23], v[90:91], s[6:7], -v[22:23]
	v_add_f64 v[38:39], v[178:179], v[38:39]
	v_mul_f64 v[178:179], v[146:147], s[46:47]
	v_add_f64 v[174:175], v[188:189], v[174:175]
	v_add_f64 v[14:15], v[36:37], v[14:15]
	v_fma_f64 v[36:37], v[132:133], s[0:1], v[180:181]
	v_fma_f64 v[180:181], v[160:161], s[12:13], -v[182:183]
	v_fma_f64 v[18:19], v[118:119], s[14:15], -v[18:19]
	v_mul_f64 v[190:191], v[164:165], s[16:17]
	v_add_f64 v[38:39], v[186:187], v[38:39]
	v_fma_f64 v[186:187], v[144:145], s[18:19], -v[178:179]
	v_add_f64 v[16:17], v[12:13], v[16:17]
	v_add_f64 v[14:15], v[176:177], v[14:15]
	v_fma_f64 v[176:177], v[144:145], s[18:19], v[178:179]
	v_add_f64 v[32:33], v[36:37], v[32:33]
	v_mul_f64 v[36:37], v[152:153], s[38:39]
	v_mul_f64 v[198:199], v[148:149], s[10:11]
	v_add_f64 v[38:39], v[184:185], v[38:39]
	v_add_f64 v[174:175], v[186:187], v[174:175]
	v_mul_f64 v[186:187], v[140:141], s[26:27]
	v_add_f64 v[14:15], v[40:41], v[14:15]
	v_fma_f64 v[40:41], v[160:161], s[12:13], v[182:183]
	v_add_f64 v[32:33], v[176:177], v[32:33]
	v_fma_f64 v[176:177], v[156:157], s[14:15], -v[36:37]
	v_fma_f64 v[36:37], v[156:157], s[14:15], v[36:37]
	v_add_f64 v[34:35], v[34:35], v[38:39]
	v_fma_f64 v[38:39], v[158:159], s[6:7], -v[172:173]
	v_add_f64 v[174:175], v[180:181], v[174:175]
	v_add_f64 v[14:15], v[24:25], v[14:15]
	v_fma_f64 v[24:25], v[158:159], s[6:7], v[172:173]
	v_add_f64 v[32:33], v[40:41], v[32:33]
	v_fma_f64 v[40:41], v[44:45], s[22:23], v[26:27]
	v_mul_f64 v[182:183], v[166:167], s[26:27]
	v_add_f64 v[30:31], v[30:31], v[34:35]
	v_mul_f64 v[34:35], v[150:151], s[4:5]
	v_add_f64 v[38:39], v[38:39], v[174:175]
	v_add_f64 v[22:23], v[22:23], v[14:15]
	;; [unrolled: 1-line block ×4, first 2 shown]
	v_fma_f64 v[20:21], v[44:45], s[22:23], -v[26:27]
	v_fma_f64 v[192:193], v[104:105], s[12:13], v[182:183]
	v_add_f64 v[28:29], v[28:29], v[30:31]
	v_fma_f64 v[30:31], v[154:155], s[22:23], -v[34:35]
	v_add_f64 v[38:39], v[176:177], v[38:39]
	v_mul_f64 v[176:177], v[138:139], s[44:45]
	v_fma_f64 v[194:195], v[132:133], s[12:13], -v[186:187]
	v_add_f64 v[26:27], v[36:37], v[24:25]
	v_mul_f64 v[36:37], v[142:143], s[20:21]
	v_fma_f64 v[182:183], v[104:105], s[12:13], -v[182:183]
	v_add_f64 v[18:19], v[18:19], v[22:23]
	v_fma_f64 v[22:23], v[154:155], s[22:23], v[34:35]
	v_add_f64 v[10:11], v[30:31], v[38:39]
	v_mul_f64 v[30:31], v[170:171], s[20:21]
	v_mul_f64 v[38:39], v[168:169], s[44:45]
	v_fma_f64 v[188:189], v[134:135], s[22:23], -v[176:177]
	v_fma_f64 v[178:179], v[136:137], s[18:19], -v[36:37]
	v_fma_f64 v[36:37], v[136:137], s[18:19], v[36:37]
	v_mul_f64 v[34:35], v[124:125], s[40:41]
	v_fma_f64 v[176:177], v[134:135], s[22:23], v[176:177]
	v_mul_f64 v[32:33], v[116:117], s[36:37]
	v_fma_f64 v[172:173], v[110:111], s[18:19], v[30:31]
	v_fma_f64 v[30:31], v[110:111], s[18:19], -v[30:31]
	v_fma_f64 v[184:185], v[102:103], s[22:23], v[38:39]
	v_add_f64 v[178:179], v[0:1], v[178:179]
	v_fma_f64 v[38:39], v[102:103], s[22:23], -v[38:39]
	v_add_f64 v[36:37], v[0:1], v[36:37]
	v_fma_f64 v[180:181], v[92:93], s[0:1], v[34:35]
	v_fma_f64 v[34:35], v[92:93], s[0:1], -v[34:35]
	v_add_f64 v[172:173], v[4:5], v[172:173]
	v_add_f64 v[30:31], v[4:5], v[30:31]
	v_fma_f64 v[186:187], v[132:133], s[12:13], v[186:187]
	v_add_f64 v[178:179], v[188:189], v[178:179]
	v_fma_f64 v[188:189], v[94:95], s[8:9], v[190:191]
	v_fma_f64 v[190:191], v[94:95], s[8:9], -v[190:191]
	v_add_f64 v[36:37], v[176:177], v[36:37]
	v_add_f64 v[12:13], v[40:41], v[28:29]
	;; [unrolled: 1-line block ×3, first 2 shown]
	v_mul_f64 v[184:185], v[146:147], s[16:17]
	v_add_f64 v[30:31], v[38:39], v[30:31]
	v_add_f64 v[178:179], v[194:195], v[178:179]
	v_mul_f64 v[28:29], v[112:113], s[10:11]
	v_fma_f64 v[174:175], v[90:91], s[14:15], v[32:33]
	v_mul_f64 v[176:177], v[152:153], s[10:11]
	v_fma_f64 v[32:33], v[90:91], s[14:15], -v[32:33]
	v_add_f64 v[38:39], v[192:193], v[172:173]
	v_mul_f64 v[172:173], v[148:149], s[40:41]
	v_fma_f64 v[192:193], v[144:145], s[8:9], -v[184:185]
	v_add_f64 v[30:31], v[182:183], v[30:31]
	v_mul_f64 v[182:183], v[162:163], s[36:37]
	v_fma_f64 v[184:185], v[144:145], s[8:9], v[184:185]
	v_add_f64 v[36:37], v[186:187], v[36:37]
	v_mul_f64 v[24:25], v[106:107], s[34:35]
	v_add_f64 v[38:39], v[188:189], v[38:39]
	v_fma_f64 v[188:189], v[160:161], s[0:1], -v[172:173]
	v_add_f64 v[178:179], v[192:193], v[178:179]
	v_add_f64 v[30:31], v[190:191], v[30:31]
	v_fma_f64 v[40:41], v[118:119], s[6:7], v[28:29]
	v_fma_f64 v[28:29], v[118:119], s[6:7], -v[28:29]
	v_fma_f64 v[172:173], v[160:161], s[0:1], v[172:173]
	v_add_f64 v[36:37], v[184:185], v[36:37]
	v_add_f64 v[38:39], v[180:181], v[38:39]
	v_fma_f64 v[180:181], v[158:159], s[14:15], -v[182:183]
	v_add_f64 v[178:179], v[188:189], v[178:179]
	v_add_f64 v[30:31], v[34:35], v[30:31]
	;; [unrolled: 1-line block ×3, first 2 shown]
	v_fma_f64 v[26:27], v[156:157], s[6:7], v[176:177]
	v_mul_f64 v[186:187], v[140:141], s[38:39]
	v_add_f64 v[36:37], v[172:173], v[36:37]
	v_add_f64 v[34:35], v[174:175], v[38:39]
	v_mul_f64 v[38:39], v[150:151], s[34:35]
	v_fma_f64 v[174:175], v[156:157], s[6:7], -v[176:177]
	v_add_f64 v[178:179], v[180:181], v[178:179]
	v_add_f64 v[30:31], v[32:33], v[30:31]
	v_fma_f64 v[32:33], v[44:45], s[24:25], v[24:25]
	v_fma_f64 v[180:181], v[158:159], s[14:15], v[182:183]
	v_mul_f64 v[182:183], v[164:165], s[42:43]
	v_add_f64 v[34:35], v[40:41], v[34:35]
	v_fma_f64 v[40:41], v[154:155], s[24:25], -v[38:39]
	v_mul_f64 v[190:191], v[124:125], s[10:11]
	v_add_f64 v[174:175], v[174:175], v[178:179]
	v_add_f64 v[28:29], v[28:29], v[30:31]
	v_mul_f64 v[30:31], v[170:171], s[4:5]
	v_fma_f64 v[178:179], v[44:45], s[24:25], -v[24:25]
	v_add_f64 v[24:25], v[20:21], v[18:19]
	v_add_f64 v[20:21], v[32:33], v[34:35]
	;; [unrolled: 1-line block ×3, first 2 shown]
	v_mul_f64 v[34:35], v[168:169], s[48:49]
	v_add_f64 v[18:19], v[40:41], v[174:175]
	v_fma_f64 v[36:37], v[154:155], s[24:25], v[38:39]
	v_mul_f64 v[38:39], v[142:143], s[4:5]
	v_fma_f64 v[40:41], v[110:111], s[22:23], v[30:31]
	v_add_f64 v[28:29], v[178:179], v[28:29]
	v_mul_f64 v[178:179], v[138:139], s[48:49]
	v_add_f64 v[26:27], v[26:27], v[32:33]
	v_mul_f64 v[32:33], v[166:167], s[38:39]
	v_fma_f64 v[176:177], v[102:103], s[8:9], v[34:35]
	v_fma_f64 v[30:31], v[110:111], s[22:23], -v[30:31]
	v_fma_f64 v[180:181], v[136:137], s[22:23], -v[38:39]
	v_add_f64 v[40:41], v[4:5], v[40:41]
	v_fma_f64 v[192:193], v[94:95], s[24:25], v[182:183]
	v_fma_f64 v[188:189], v[134:135], s[8:9], -v[178:179]
	v_mul_f64 v[194:195], v[146:147], s[42:43]
	v_fma_f64 v[184:185], v[104:105], s[14:15], v[32:33]
	v_fma_f64 v[196:197], v[132:133], s[14:15], -v[186:187]
	v_fma_f64 v[34:35], v[102:103], s[8:9], -v[34:35]
	v_add_f64 v[180:181], v[0:1], v[180:181]
	v_add_f64 v[40:41], v[176:177], v[40:41]
	;; [unrolled: 1-line block ×3, first 2 shown]
	v_fma_f64 v[32:33], v[104:105], s[14:15], -v[32:33]
	v_fma_f64 v[200:201], v[144:145], s[24:25], -v[194:195]
	v_fma_f64 v[38:39], v[136:137], s[22:23], v[38:39]
	v_mul_f64 v[174:175], v[112:113], s[26:27]
	v_fma_f64 v[202:203], v[160:161], s[6:7], -v[198:199]
	v_add_f64 v[180:181], v[188:189], v[180:181]
	v_add_f64 v[40:41], v[184:185], v[40:41]
	v_mul_f64 v[184:185], v[116:117], s[40:41]
	v_fma_f64 v[188:189], v[92:93], s[6:7], v[190:191]
	v_add_f64 v[30:31], v[34:35], v[30:31]
	v_fma_f64 v[182:183], v[94:95], s[24:25], -v[182:183]
	v_fma_f64 v[178:179], v[134:135], s[8:9], v[178:179]
	v_add_f64 v[38:39], v[0:1], v[38:39]
	v_add_f64 v[180:181], v[196:197], v[180:181]
	;; [unrolled: 1-line block ×3, first 2 shown]
	v_fma_f64 v[192:193], v[90:91], s[0:1], v[184:185]
	v_mul_f64 v[196:197], v[162:163], s[40:41]
	v_add_f64 v[30:31], v[32:33], v[30:31]
	v_mul_f64 v[172:173], v[106:107], s[20:21]
	v_fma_f64 v[176:177], v[118:119], s[12:13], v[174:175]
	v_fma_f64 v[190:191], v[92:93], s[6:7], -v[190:191]
	v_add_f64 v[34:35], v[200:201], v[180:181]
	v_add_f64 v[40:41], v[188:189], v[40:41]
	v_mul_f64 v[180:181], v[152:153], s[26:27]
	v_fma_f64 v[188:189], v[158:159], s[0:1], -v[196:197]
	v_fma_f64 v[186:187], v[132:133], s[14:15], v[186:187]
	v_add_f64 v[38:39], v[178:179], v[38:39]
	v_add_f64 v[30:31], v[182:183], v[30:31]
	v_fma_f64 v[178:179], v[44:45], s[18:19], v[172:173]
	v_add_f64 v[32:33], v[202:203], v[34:35]
	v_add_f64 v[34:35], v[192:193], v[40:41]
	v_mul_f64 v[40:41], v[150:151], s[20:21]
	v_fma_f64 v[192:193], v[156:157], s[12:13], -v[180:181]
	v_fma_f64 v[182:183], v[90:91], s[0:1], -v[184:185]
	v_fma_f64 v[184:185], v[144:145], s[24:25], v[194:195]
	v_add_f64 v[38:39], v[186:187], v[38:39]
	v_add_f64 v[30:31], v[190:191], v[30:31]
	;; [unrolled: 1-line block ×4, first 2 shown]
	v_fma_f64 v[176:177], v[154:155], s[18:19], -v[40:41]
	v_add_f64 v[26:27], v[36:37], v[26:27]
	v_fma_f64 v[36:37], v[160:161], s[6:7], v[198:199]
	v_mul_f64 v[200:201], v[148:149], s[42:43]
	v_add_f64 v[38:39], v[184:185], v[38:39]
	v_mul_f64 v[184:185], v[168:169], s[10:11]
	v_add_f64 v[186:187], v[192:193], v[32:33]
	v_add_f64 v[32:33], v[178:179], v[34:35]
	v_fma_f64 v[34:35], v[118:119], s[12:13], -v[174:175]
	v_mul_f64 v[174:175], v[170:171], s[30:31]
	v_add_f64 v[178:179], v[182:183], v[30:31]
	v_mul_f64 v[182:183], v[142:143], s[30:31]
	v_add_f64 v[36:37], v[36:37], v[38:39]
	v_fma_f64 v[38:39], v[156:157], s[12:13], v[180:181]
	v_add_f64 v[30:31], v[176:177], v[186:187]
	v_mul_f64 v[180:181], v[138:139], s[10:11]
	v_fma_f64 v[176:177], v[158:159], s[0:1], v[196:197]
	v_fma_f64 v[186:187], v[110:111], s[0:1], v[174:175]
	v_add_f64 v[34:35], v[34:35], v[178:179]
	v_fma_f64 v[188:189], v[136:137], s[0:1], -v[182:183]
	v_mul_f64 v[178:179], v[166:167], s[44:45]
	v_fma_f64 v[190:191], v[102:103], s[6:7], v[184:185]
	v_mul_f64 v[192:193], v[140:141], s[44:45]
	v_fma_f64 v[194:195], v[134:135], s[6:7], -v[180:181]
	v_add_f64 v[36:37], v[176:177], v[36:37]
	v_add_f64 v[186:187], v[4:5], v[186:187]
	v_fma_f64 v[176:177], v[154:155], s[18:19], v[40:41]
	v_add_f64 v[188:189], v[0:1], v[188:189]
	v_mul_f64 v[40:41], v[164:165], s[28:29]
	v_fma_f64 v[196:197], v[104:105], s[22:23], v[178:179]
	v_fma_f64 v[174:175], v[110:111], s[0:1], -v[174:175]
	v_fma_f64 v[198:199], v[132:133], s[22:23], -v[192:193]
	v_add_f64 v[36:37], v[38:39], v[36:37]
	v_add_f64 v[186:187], v[190:191], v[186:187]
	v_mul_f64 v[190:191], v[146:147], s[28:29]
	v_add_f64 v[188:189], v[194:195], v[188:189]
	v_mul_f64 v[38:39], v[124:125], s[42:43]
	v_fma_f64 v[194:195], v[94:95], s[12:13], v[40:41]
	v_fma_f64 v[184:185], v[102:103], s[6:7], -v[184:185]
	v_add_f64 v[174:175], v[4:5], v[174:175]
	v_fma_f64 v[178:179], v[104:105], s[22:23], -v[178:179]
	v_add_f64 v[186:187], v[196:197], v[186:187]
	v_fma_f64 v[202:203], v[144:145], s[12:13], -v[190:191]
	v_add_f64 v[188:189], v[198:199], v[188:189]
	v_mul_f64 v[196:197], v[116:117], s[16:17]
	v_fma_f64 v[198:199], v[92:93], s[24:25], v[38:39]
	v_fma_f64 v[204:205], v[160:161], s[24:25], -v[200:201]
	v_add_f64 v[174:175], v[184:185], v[174:175]
	v_mul_f64 v[184:185], v[162:163], s[16:17]
	v_add_f64 v[186:187], v[194:195], v[186:187]
	v_mul_f64 v[194:195], v[112:113], s[46:47]
	v_add_f64 v[188:189], v[202:203], v[188:189]
	v_fma_f64 v[202:203], v[90:91], s[8:9], v[196:197]
	v_fma_f64 v[40:41], v[94:95], s[12:13], -v[40:41]
	v_fma_f64 v[182:183], v[136:137], s[0:1], v[182:183]
	v_add_f64 v[174:175], v[178:179], v[174:175]
	v_mul_f64 v[178:179], v[152:153], s[46:47]
	v_add_f64 v[186:187], v[198:199], v[186:187]
	v_fma_f64 v[206:207], v[158:159], s[8:9], -v[184:185]
	v_add_f64 v[188:189], v[204:205], v[188:189]
	v_fma_f64 v[204:205], v[118:119], s[18:19], v[194:195]
	v_fma_f64 v[172:173], v[44:45], s[18:19], -v[172:173]
	v_mul_f64 v[198:199], v[106:107], s[38:39]
	v_add_f64 v[40:41], v[40:41], v[174:175]
	v_mul_f64 v[174:175], v[150:151], s[38:39]
	v_add_f64 v[186:187], v[202:203], v[186:187]
	v_fma_f64 v[202:203], v[156:157], s[18:19], -v[178:179]
	v_add_f64 v[188:189], v[206:207], v[188:189]
	v_fma_f64 v[38:39], v[92:93], s[24:25], -v[38:39]
	v_fma_f64 v[180:181], v[134:135], s[6:7], v[180:181]
	v_add_f64 v[182:183], v[0:1], v[182:183]
	v_fma_f64 v[206:207], v[44:45], s[14:15], v[198:199]
	v_fma_f64 v[196:197], v[90:91], s[8:9], -v[196:197]
	v_add_f64 v[186:187], v[204:205], v[186:187]
	v_fma_f64 v[204:205], v[154:155], s[14:15], -v[174:175]
	v_add_f64 v[188:189], v[202:203], v[188:189]
	v_add_f64 v[38:39], v[38:39], v[40:41]
	;; [unrolled: 1-line block ×3, first 2 shown]
	v_fma_f64 v[192:193], v[132:133], s[22:23], v[192:193]
	v_add_f64 v[180:181], v[180:181], v[182:183]
	v_fma_f64 v[172:173], v[118:119], s[18:19], -v[194:195]
	s_mov_b32 s41, 0x3fc7851a
	s_mov_b32 s40, s10
	v_add_f64 v[34:35], v[204:205], v[188:189]
	v_mul_f64 v[188:189], v[170:171], s[42:43]
	v_add_f64 v[182:183], v[196:197], v[38:39]
	v_add_f64 v[38:39], v[176:177], v[36:37]
	v_add_f64 v[36:37], v[206:207], v[186:187]
	v_fma_f64 v[186:187], v[144:145], s[12:13], v[190:191]
	v_add_f64 v[180:181], v[192:193], v[180:181]
	v_mul_f64 v[190:191], v[142:143], s[42:43]
	v_mul_f64 v[192:193], v[168:169], s[20:21]
	v_fma_f64 v[194:195], v[110:111], s[24:25], v[188:189]
	v_fma_f64 v[176:177], v[44:45], s[14:15], -v[198:199]
	v_add_f64 v[172:173], v[172:173], v[182:183]
	v_fma_f64 v[182:183], v[154:155], s[14:15], v[174:175]
	v_fma_f64 v[174:175], v[158:159], s[8:9], v[184:185]
	;; [unrolled: 1-line block ×3, first 2 shown]
	v_add_f64 v[180:181], v[186:187], v[180:181]
	v_mul_f64 v[186:187], v[166:167], s[40:41]
	v_mul_f64 v[196:197], v[138:139], s[20:21]
	v_fma_f64 v[198:199], v[136:137], s[24:25], -v[190:191]
	v_fma_f64 v[200:201], v[102:103], s[18:19], v[192:193]
	v_add_f64 v[194:195], v[4:5], v[194:195]
	v_mul_f64 v[202:203], v[140:141], s[40:41]
	v_fma_f64 v[188:189], v[110:111], s[24:25], -v[188:189]
	v_add_f64 v[180:181], v[184:185], v[180:181]
	v_mul_f64 v[184:185], v[164:165], s[44:45]
	v_fma_f64 v[204:205], v[134:135], s[18:19], -v[196:197]
	v_add_f64 v[198:199], v[0:1], v[198:199]
	v_fma_f64 v[206:207], v[104:105], s[6:7], v[186:187]
	v_add_f64 v[194:195], v[200:201], v[194:195]
	v_mul_f64 v[200:201], v[146:147], s[44:45]
	v_fma_f64 v[208:209], v[132:133], s[6:7], -v[202:203]
	v_add_f64 v[174:175], v[174:175], v[180:181]
	v_mul_f64 v[180:181], v[124:125], s[38:39]
	v_fma_f64 v[192:193], v[102:103], s[18:19], -v[192:193]
	v_add_f64 v[198:199], v[204:205], v[198:199]
	v_fma_f64 v[204:205], v[94:95], s[22:23], v[184:185]
	v_add_f64 v[194:195], v[206:207], v[194:195]
	v_mul_f64 v[206:207], v[116:117], s[26:27]
	v_add_f64 v[188:189], v[4:5], v[188:189]
	v_mul_f64 v[210:211], v[148:149], s[38:39]
	v_fma_f64 v[212:213], v[144:145], s[22:23], -v[200:201]
	v_fma_f64 v[186:187], v[104:105], s[6:7], -v[186:187]
	v_add_f64 v[198:199], v[208:209], v[198:199]
	v_fma_f64 v[208:209], v[92:93], s[14:15], v[180:181]
	v_add_f64 v[194:195], v[204:205], v[194:195]
	v_mul_f64 v[204:205], v[112:113], s[30:31]
	v_add_f64 v[188:189], v[192:193], v[188:189]
	v_mul_f64 v[192:193], v[162:163], s[26:27]
	v_fma_f64 v[214:215], v[160:161], s[14:15], -v[210:211]
	v_fma_f64 v[178:179], v[156:157], s[18:19], v[178:179]
	v_add_f64 v[198:199], v[212:213], v[198:199]
	v_fma_f64 v[212:213], v[90:91], s[12:13], v[206:207]
	v_add_f64 v[194:195], v[208:209], v[194:195]
	v_fma_f64 v[184:185], v[94:95], s[22:23], -v[184:185]
	v_add_f64 v[186:187], v[186:187], v[188:189]
	v_mul_f64 v[188:189], v[152:153], s[30:31]
	v_fma_f64 v[216:217], v[158:159], s[12:13], -v[192:193]
	v_add_f64 v[178:179], v[178:179], v[174:175]
	v_add_f64 v[198:199], v[214:215], v[198:199]
	v_fma_f64 v[214:215], v[118:119], s[0:1], v[204:205]
	v_add_f64 v[194:195], v[212:213], v[194:195]
	v_fma_f64 v[174:175], v[92:93], s[14:15], -v[180:181]
	v_add_f64 v[180:181], v[184:185], v[186:187]
	v_fma_f64 v[186:187], v[156:157], s[0:1], -v[188:189]
	v_fma_f64 v[190:191], v[136:137], s[24:25], v[190:191]
	v_fma_f64 v[206:207], v[90:91], s[12:13], -v[206:207]
	v_add_f64 v[198:199], v[216:217], v[198:199]
	v_mul_f64 v[216:217], v[142:143], s[36:37]
	v_add_f64 v[194:195], v[214:215], v[194:195]
	v_mul_f64 v[214:215], v[170:171], s[36:37]
	v_add_f64 v[174:175], v[174:175], v[180:181]
	v_fma_f64 v[196:197], v[134:135], s[18:19], v[196:197]
	v_add_f64 v[190:191], v[0:1], v[190:191]
	v_mul_f64 v[222:223], v[166:167], s[20:21]
	v_add_f64 v[186:187], v[186:187], v[198:199]
	v_fma_f64 v[198:199], v[118:119], s[0:1], -v[204:205]
	v_mul_f64 v[204:205], v[168:169], s[30:31]
	v_fma_f64 v[218:219], v[110:111], s[14:15], v[214:215]
	v_add_f64 v[174:175], v[206:207], v[174:175]
	v_mul_f64 v[206:207], v[138:139], s[30:31]
	v_fma_f64 v[220:221], v[136:137], s[14:15], -v[216:217]
	v_fma_f64 v[202:203], v[132:133], s[6:7], v[202:203]
	v_add_f64 v[190:191], v[196:197], v[190:191]
	v_mul_f64 v[226:227], v[140:141], s[20:21]
	v_fma_f64 v[224:225], v[102:103], s[0:1], v[204:205]
	v_add_f64 v[218:219], v[4:5], v[218:219]
	v_mul_f64 v[196:197], v[164:165], s[10:11]
	v_fma_f64 v[228:229], v[134:135], s[0:1], -v[206:207]
	v_add_f64 v[220:221], v[0:1], v[220:221]
	v_fma_f64 v[230:231], v[104:105], s[18:19], v[222:223]
	v_fma_f64 v[200:201], v[144:145], s[22:23], v[200:201]
	v_add_f64 v[190:191], v[202:203], v[190:191]
	v_add_f64 v[130:131], v[4:5], v[130:131]
	;; [unrolled: 1-line block ×4, first 2 shown]
	v_mul_f64 v[224:225], v[146:147], s[10:11]
	v_fma_f64 v[232:233], v[132:133], s[18:19], -v[226:227]
	v_add_f64 v[220:221], v[228:229], v[220:221]
	v_mul_f64 v[202:203], v[124:125], s[48:49]
	v_fma_f64 v[228:229], v[94:95], s[6:7], v[196:197]
	v_fma_f64 v[210:211], v[160:161], s[14:15], v[210:211]
	v_add_f64 v[218:219], v[230:231], v[218:219]
	v_add_f64 v[190:191], v[200:201], v[190:191]
	;; [unrolled: 1-line block ×4, first 2 shown]
	v_mul_f64 v[230:231], v[148:149], s[48:49]
	v_fma_f64 v[234:235], v[144:145], s[6:7], -v[224:225]
	v_add_f64 v[220:221], v[232:233], v[220:221]
	v_mul_f64 v[200:201], v[116:117], s[44:45]
	v_fma_f64 v[232:233], v[92:93], s[8:9], v[202:203]
	v_add_f64 v[218:219], v[228:229], v[218:219]
	v_fma_f64 v[192:193], v[158:159], s[12:13], v[192:193]
	v_add_f64 v[190:191], v[210:211], v[190:191]
	v_add_f64 v[120:121], v[120:121], v[128:129]
	v_add_f64 v[114:115], v[114:115], v[122:123]
	v_mul_f64 v[208:209], v[106:107], s[16:17]
	v_mul_f64 v[184:185], v[150:151], s[16:17]
	v_fma_f64 v[236:237], v[160:161], s[8:9], -v[230:231]
	v_add_f64 v[220:221], v[234:235], v[220:221]
	v_mul_f64 v[210:211], v[112:113], s[34:35]
	v_fma_f64 v[234:235], v[90:91], s[22:23], v[200:201]
	v_add_f64 v[218:219], v[232:233], v[218:219]
	v_fma_f64 v[188:189], v[156:157], s[0:1], v[188:189]
	v_add_f64 v[190:191], v[192:193], v[190:191]
	v_add_f64 v[108:109], v[108:109], v[120:121]
	;; [unrolled: 1-line block ×3, first 2 shown]
	v_fma_f64 v[212:213], v[44:45], s[8:9], v[208:209]
	v_fma_f64 v[180:181], v[154:155], s[8:9], -v[184:185]
	v_add_f64 v[220:221], v[236:237], v[220:221]
	v_mul_f64 v[192:193], v[106:107], s[28:29]
	v_fma_f64 v[236:237], v[118:119], s[24:25], v[210:211]
	v_add_f64 v[218:219], v[234:235], v[218:219]
	v_fma_f64 v[208:209], v[44:45], s[8:9], -v[208:209]
	v_add_f64 v[198:199], v[198:199], v[174:175]
	v_fma_f64 v[184:185], v[154:155], s[8:9], v[184:185]
	v_add_f64 v[188:189], v[188:189], v[190:191]
	v_mul_f64 v[170:171], v[170:171], s[26:27]
	v_add_f64 v[88:89], v[88:89], v[108:109]
	v_add_f64 v[86:87], v[86:87], v[100:101]
	v_fma_f64 v[190:191], v[44:45], s[12:13], v[192:193]
	v_add_f64 v[218:219], v[236:237], v[218:219]
	v_add_f64 v[174:175], v[176:177], v[172:173]
	;; [unrolled: 1-line block ×7, first 2 shown]
	v_fma_f64 v[188:189], v[110:111], s[14:15], -v[214:215]
	v_fma_f64 v[194:195], v[136:137], s[14:15], v[216:217]
	v_fma_f64 v[198:199], v[90:91], s[22:23], -v[200:201]
	v_fma_f64 v[200:201], v[92:93], s[8:9], -v[202:203]
	;; [unrolled: 1-line block ×3, first 2 shown]
	v_mul_f64 v[168:169], v[168:169], s[36:37]
	v_fma_f64 v[204:205], v[110:111], s[12:13], v[170:171]
	v_add_f64 v[84:85], v[84:85], v[88:89]
	v_add_f64 v[82:83], v[82:83], v[86:87]
	v_add_f64 v[186:187], v[190:191], v[218:219]
	v_fma_f64 v[190:191], v[118:119], s[24:25], -v[210:211]
	v_add_f64 v[188:189], v[4:5], v[188:189]
	v_fma_f64 v[206:207], v[134:135], s[0:1], v[206:207]
	v_add_f64 v[194:195], v[0:1], v[194:195]
	v_mul_f64 v[166:167], v[166:167], s[42:43]
	v_fma_f64 v[210:211], v[102:103], s[14:15], v[168:169]
	v_add_f64 v[204:205], v[4:5], v[204:205]
	v_mul_f64 v[88:89], v[142:143], s[26:27]
	v_add_f64 v[80:81], v[80:81], v[84:85]
	v_add_f64 v[78:79], v[78:79], v[82:83]
	v_fma_f64 v[208:209], v[104:105], s[18:19], -v[222:223]
	v_add_f64 v[188:189], v[202:203], v[188:189]
	v_fma_f64 v[202:203], v[132:133], s[18:19], v[226:227]
	v_add_f64 v[194:195], v[206:207], v[194:195]
	v_mul_f64 v[164:165], v[164:165], s[30:31]
	v_fma_f64 v[206:207], v[104:105], s[24:25], v[166:167]
	v_add_f64 v[204:205], v[210:211], v[204:205]
	v_mul_f64 v[82:83], v[138:139], s[36:37]
	v_fma_f64 v[84:85], v[136:137], s[12:13], -v[88:89]
	v_fma_f64 v[110:111], v[110:111], s[12:13], -v[170:171]
	v_fma_f64 v[88:89], v[136:137], s[12:13], v[88:89]
	v_add_f64 v[76:77], v[76:77], v[80:81]
	v_add_f64 v[72:73], v[72:73], v[78:79]
	v_fma_f64 v[196:197], v[94:95], s[6:7], -v[196:197]
	v_add_f64 v[188:189], v[208:209], v[188:189]
	v_fma_f64 v[208:209], v[144:145], s[6:7], v[224:225]
	v_add_f64 v[194:195], v[202:203], v[194:195]
	v_mul_f64 v[124:125], v[124:125], s[4:5]
	v_fma_f64 v[202:203], v[94:95], s[0:1], v[164:165]
	v_add_f64 v[126:127], v[206:207], v[204:205]
	v_mul_f64 v[140:141], v[140:141], s[42:43]
	v_fma_f64 v[78:79], v[134:135], s[14:15], -v[82:83]
	v_add_f64 v[80:81], v[0:1], v[84:85]
	v_fma_f64 v[84:85], v[102:103], s[14:15], -v[168:169]
	v_add_f64 v[4:5], v[4:5], v[110:111]
	v_fma_f64 v[82:83], v[134:135], s[14:15], v[82:83]
	v_add_f64 v[0:1], v[0:1], v[88:89]
	v_add_f64 v[70:71], v[70:71], v[76:77]
	;; [unrolled: 1-line block ×3, first 2 shown]
	v_mul_f64 v[228:229], v[162:163], s[44:45]
	v_add_f64 v[130:131], v[196:197], v[188:189]
	v_fma_f64 v[188:189], v[160:161], s[8:9], v[230:231]
	v_add_f64 v[194:195], v[208:209], v[194:195]
	v_mul_f64 v[116:117], v[116:117], s[20:21]
	v_fma_f64 v[196:197], v[92:93], s[22:23], v[124:125]
	v_add_f64 v[122:123], v[202:203], v[126:127]
	v_mul_f64 v[138:139], v[146:147], s[30:31]
	v_fma_f64 v[72:73], v[132:133], s[24:25], -v[140:141]
	v_add_f64 v[76:77], v[78:79], v[80:81]
	v_fma_f64 v[78:79], v[104:105], s[24:25], -v[166:167]
	v_add_f64 v[4:5], v[84:85], v[4:5]
	v_fma_f64 v[80:81], v[132:133], s[24:25], v[140:141]
	v_add_f64 v[0:1], v[82:83], v[0:1]
	v_add_f64 v[66:67], v[66:67], v[70:71]
	;; [unrolled: 1-line block ×4, first 2 shown]
	v_fma_f64 v[128:129], v[158:159], s[22:23], v[228:229]
	v_add_f64 v[130:131], v[188:189], v[194:195]
	v_mul_f64 v[112:113], v[112:113], s[16:17]
	v_fma_f64 v[188:189], v[90:91], s[18:19], v[116:117]
	v_add_f64 v[114:115], v[196:197], v[122:123]
	v_mul_f64 v[142:143], v[148:149], s[4:5]
	v_fma_f64 v[68:69], v[144:145], s[0:1], -v[138:139]
	v_add_f64 v[70:71], v[72:73], v[76:77]
	v_fma_f64 v[72:73], v[94:95], s[0:1], -v[164:165]
	v_add_f64 v[4:5], v[78:79], v[4:5]
	v_fma_f64 v[76:77], v[144:145], s[0:1], v[138:139]
	v_add_f64 v[0:1], v[80:81], v[0:1]
	v_add_f64 v[60:61], v[60:61], v[66:67]
	v_add_f64 v[58:59], v[58:59], v[62:63]
	v_add_f64 v[120:121], v[198:199], v[126:127]
	v_add_f64 v[126:127], v[128:129], v[130:131]
	v_fma_f64 v[128:129], v[118:119], s[8:9], v[112:113]
	v_add_f64 v[100:101], v[188:189], v[114:115]
	v_mul_f64 v[130:131], v[162:163], s[20:21]
	v_fma_f64 v[62:63], v[160:161], s[22:23], -v[142:143]
	v_add_f64 v[66:67], v[68:69], v[70:71]
	v_fma_f64 v[68:69], v[92:93], s[22:23], -v[124:125]
	v_add_f64 v[4:5], v[72:73], v[4:5]
	v_fma_f64 v[70:71], v[160:161], s[22:23], v[142:143]
	v_add_f64 v[0:1], v[76:77], v[0:1]
	v_add_f64 v[56:57], v[56:57], v[60:61]
	;; [unrolled: 1-line block ×4, first 2 shown]
	v_mul_f64 v[128:129], v[152:153], s[16:17]
	v_fma_f64 v[58:59], v[158:159], s[18:19], -v[130:131]
	v_add_f64 v[60:61], v[62:63], v[66:67]
	v_fma_f64 v[62:63], v[90:91], s[18:19], -v[116:117]
	v_add_f64 v[4:5], v[68:69], v[4:5]
	v_fma_f64 v[66:67], v[158:159], s[18:19], v[130:131]
	v_add_f64 v[0:1], v[70:71], v[0:1]
	v_add_f64 v[52:53], v[52:53], v[56:57]
	;; [unrolled: 1-line block ×3, first 2 shown]
	v_mul_f64 v[232:233], v[152:153], s[34:35]
	v_mul_f64 v[106:107], v[106:107], s[10:11]
	v_fma_f64 v[54:55], v[156:157], s[8:9], -v[128:129]
	v_add_f64 v[56:57], v[58:59], v[60:61]
	v_fma_f64 v[58:59], v[118:119], s[8:9], -v[112:113]
	v_add_f64 v[4:5], v[62:63], v[4:5]
	v_fma_f64 v[60:61], v[156:157], s[8:9], v[128:129]
	v_add_f64 v[0:1], v[66:67], v[0:1]
	v_add_f64 v[52:53], v[74:75], v[52:53]
	;; [unrolled: 1-line block ×3, first 2 shown]
	v_mul_f64 v[100:101], v[150:151], s[10:11]
	v_mul_f64 v[234:235], v[150:151], s[28:29]
	v_fma_f64 v[122:123], v[156:157], s[24:25], v[232:233]
	v_fma_f64 v[238:239], v[158:159], s[22:23], -v[228:229]
	v_add_f64 v[54:55], v[54:55], v[56:57]
	v_fma_f64 v[56:57], v[44:45], s[6:7], -v[106:107]
	v_add_f64 v[4:5], v[58:59], v[4:5]
	v_add_f64 v[0:1], v[60:61], v[0:1]
	;; [unrolled: 1-line block ×4, first 2 shown]
	v_fma_f64 v[46:47], v[154:155], s[6:7], -v[100:101]
	v_fma_f64 v[58:59], v[154:155], s[6:7], v[100:101]
	v_fma_f64 v[108:109], v[44:45], s[12:13], -v[192:193]
	v_add_f64 v[114:115], v[190:191], v[120:121]
	v_fma_f64 v[120:121], v[154:155], s[12:13], v[234:235]
	v_add_f64 v[122:123], v[122:123], v[126:127]
	v_fma_f64 v[240:241], v[156:157], s[24:25], -v[232:233]
	v_add_f64 v[220:221], v[238:239], v[220:221]
	v_add_f64 v[56:57], v[56:57], v[4:5]
	;; [unrolled: 1-line block ×6, first 2 shown]
	v_fma_f64 v[126:127], v[44:45], s[6:7], v[106:107]
	v_add_f64 v[44:45], v[108:109], v[114:115]
	v_add_f64 v[42:43], v[120:121], v[122:123]
	v_mov_b32_e32 v0, s3
	v_add_co_u32_e32 v46, vcc, s2, v96
	v_addc_co_u32_e32 v47, vcc, v0, v97, vcc
	v_lshlrev_b64 v[0:1], 4, v[98:99]
	v_fma_f64 v[236:237], v[154:155], s[12:13], -v[234:235]
	v_add_co_u32_e32 v0, vcc, v46, v0
	v_addc_co_u32_e32 v1, vcc, v47, v1, vcc
	v_add_f64 v[220:221], v[240:241], v[220:221]
	global_store_dwordx4 v[0:1], v[2:5], off
	global_store_dwordx4 v[0:1], v[54:57], off offset:1904
	global_store_dwordx4 v[0:1], v[42:45], off offset:3808
	v_add_co_u32_e32 v2, vcc, s51, v0
	v_addc_co_u32_e32 v3, vcc, 0, v1, vcc
	global_store_dwordx4 v[2:3], v[180:183], off offset:1616
	global_store_dwordx4 v[2:3], v[172:175], off offset:3520
	v_add_co_u32_e32 v2, vcc, s33, v0
	v_addc_co_u32_e32 v3, vcc, 0, v1, vcc
	;; [unrolled: 4-line block ×3, first 2 shown]
	s_movk_i32 s0, 0x4000
	v_add_f64 v[52:53], v[126:127], v[86:87]
	global_store_dwordx4 v[2:3], v[22:25], off offset:1040
	global_store_dwordx4 v[2:3], v[14:17], off offset:2944
	v_add_co_u32_e32 v2, vcc, s0, v0
	v_addc_co_u32_e32 v3, vcc, 0, v1, vcc
	s_movk_i32 s0, 0x5000
	v_add_f64 v[184:185], v[236:237], v[220:221]
	global_store_dwordx4 v[2:3], v[6:9], off offset:752
	global_store_dwordx4 v[2:3], v[10:13], off offset:2656
	v_add_co_u32_e32 v2, vcc, s0, v0
	v_addc_co_u32_e32 v3, vcc, 0, v1, vcc
	s_movk_i32 s0, 0x6000
	global_store_dwordx4 v[2:3], v[18:21], off offset:464
	global_store_dwordx4 v[2:3], v[30:33], off offset:2368
	v_add_co_u32_e32 v2, vcc, s0, v0
	v_addc_co_u32_e32 v3, vcc, 0, v1, vcc
	v_add_co_u32_e32 v0, vcc, 0x7000, v0
	v_addc_co_u32_e32 v1, vcc, 0, v1, vcc
	global_store_dwordx4 v[2:3], v[34:37], off offset:176
	global_store_dwordx4 v[2:3], v[176:179], off offset:2080
	;; [unrolled: 1-line block ×4, first 2 shown]
.LBB0_21:
	s_endpgm
	.section	.rodata,"a",@progbits
	.p2align	6, 0x0
	.amdhsa_kernel fft_rtc_back_len2023_factors_17_7_17_wgs_119_tpt_119_halfLds_dp_ip_CI_unitstride_sbrr_dirReg
		.amdhsa_group_segment_fixed_size 0
		.amdhsa_private_segment_fixed_size 0
		.amdhsa_kernarg_size 88
		.amdhsa_user_sgpr_count 6
		.amdhsa_user_sgpr_private_segment_buffer 1
		.amdhsa_user_sgpr_dispatch_ptr 0
		.amdhsa_user_sgpr_queue_ptr 0
		.amdhsa_user_sgpr_kernarg_segment_ptr 1
		.amdhsa_user_sgpr_dispatch_id 0
		.amdhsa_user_sgpr_flat_scratch_init 0
		.amdhsa_user_sgpr_private_segment_size 0
		.amdhsa_uses_dynamic_stack 0
		.amdhsa_system_sgpr_private_segment_wavefront_offset 0
		.amdhsa_system_sgpr_workgroup_id_x 1
		.amdhsa_system_sgpr_workgroup_id_y 0
		.amdhsa_system_sgpr_workgroup_id_z 0
		.amdhsa_system_sgpr_workgroup_info 0
		.amdhsa_system_vgpr_workitem_id 0
		.amdhsa_next_free_vgpr 242
		.amdhsa_next_free_sgpr 58
		.amdhsa_reserve_vcc 1
		.amdhsa_reserve_flat_scratch 0
		.amdhsa_float_round_mode_32 0
		.amdhsa_float_round_mode_16_64 0
		.amdhsa_float_denorm_mode_32 3
		.amdhsa_float_denorm_mode_16_64 3
		.amdhsa_dx10_clamp 1
		.amdhsa_ieee_mode 1
		.amdhsa_fp16_overflow 0
		.amdhsa_exception_fp_ieee_invalid_op 0
		.amdhsa_exception_fp_denorm_src 0
		.amdhsa_exception_fp_ieee_div_zero 0
		.amdhsa_exception_fp_ieee_overflow 0
		.amdhsa_exception_fp_ieee_underflow 0
		.amdhsa_exception_fp_ieee_inexact 0
		.amdhsa_exception_int_div_zero 0
	.end_amdhsa_kernel
	.text
.Lfunc_end0:
	.size	fft_rtc_back_len2023_factors_17_7_17_wgs_119_tpt_119_halfLds_dp_ip_CI_unitstride_sbrr_dirReg, .Lfunc_end0-fft_rtc_back_len2023_factors_17_7_17_wgs_119_tpt_119_halfLds_dp_ip_CI_unitstride_sbrr_dirReg
                                        ; -- End function
	.section	.AMDGPU.csdata,"",@progbits
; Kernel info:
; codeLenInByte = 18480
; NumSgprs: 62
; NumVgprs: 242
; ScratchSize: 0
; MemoryBound: 1
; FloatMode: 240
; IeeeMode: 1
; LDSByteSize: 0 bytes/workgroup (compile time only)
; SGPRBlocks: 7
; VGPRBlocks: 60
; NumSGPRsForWavesPerEU: 62
; NumVGPRsForWavesPerEU: 242
; Occupancy: 1
; WaveLimiterHint : 1
; COMPUTE_PGM_RSRC2:SCRATCH_EN: 0
; COMPUTE_PGM_RSRC2:USER_SGPR: 6
; COMPUTE_PGM_RSRC2:TRAP_HANDLER: 0
; COMPUTE_PGM_RSRC2:TGID_X_EN: 1
; COMPUTE_PGM_RSRC2:TGID_Y_EN: 0
; COMPUTE_PGM_RSRC2:TGID_Z_EN: 0
; COMPUTE_PGM_RSRC2:TIDIG_COMP_CNT: 0
	.type	__hip_cuid_39ca51a15c884de2,@object ; @__hip_cuid_39ca51a15c884de2
	.section	.bss,"aw",@nobits
	.globl	__hip_cuid_39ca51a15c884de2
__hip_cuid_39ca51a15c884de2:
	.byte	0                               ; 0x0
	.size	__hip_cuid_39ca51a15c884de2, 1

	.ident	"AMD clang version 19.0.0git (https://github.com/RadeonOpenCompute/llvm-project roc-6.4.0 25133 c7fe45cf4b819c5991fe208aaa96edf142730f1d)"
	.section	".note.GNU-stack","",@progbits
	.addrsig
	.addrsig_sym __hip_cuid_39ca51a15c884de2
	.amdgpu_metadata
---
amdhsa.kernels:
  - .args:
      - .actual_access:  read_only
        .address_space:  global
        .offset:         0
        .size:           8
        .value_kind:     global_buffer
      - .offset:         8
        .size:           8
        .value_kind:     by_value
      - .actual_access:  read_only
        .address_space:  global
        .offset:         16
        .size:           8
        .value_kind:     global_buffer
      - .actual_access:  read_only
        .address_space:  global
        .offset:         24
        .size:           8
        .value_kind:     global_buffer
      - .offset:         32
        .size:           8
        .value_kind:     by_value
      - .actual_access:  read_only
        .address_space:  global
        .offset:         40
        .size:           8
        .value_kind:     global_buffer
      - .actual_access:  read_only
        .address_space:  global
        .offset:         48
        .size:           8
        .value_kind:     global_buffer
      - .offset:         56
        .size:           4
        .value_kind:     by_value
      - .actual_access:  read_only
        .address_space:  global
        .offset:         64
        .size:           8
        .value_kind:     global_buffer
      - .actual_access:  read_only
        .address_space:  global
        .offset:         72
        .size:           8
        .value_kind:     global_buffer
      - .address_space:  global
        .offset:         80
        .size:           8
        .value_kind:     global_buffer
    .group_segment_fixed_size: 0
    .kernarg_segment_align: 8
    .kernarg_segment_size: 88
    .language:       OpenCL C
    .language_version:
      - 2
      - 0
    .max_flat_workgroup_size: 119
    .name:           fft_rtc_back_len2023_factors_17_7_17_wgs_119_tpt_119_halfLds_dp_ip_CI_unitstride_sbrr_dirReg
    .private_segment_fixed_size: 0
    .sgpr_count:     62
    .sgpr_spill_count: 0
    .symbol:         fft_rtc_back_len2023_factors_17_7_17_wgs_119_tpt_119_halfLds_dp_ip_CI_unitstride_sbrr_dirReg.kd
    .uniform_work_group_size: 1
    .uses_dynamic_stack: false
    .vgpr_count:     242
    .vgpr_spill_count: 0
    .wavefront_size: 64
amdhsa.target:   amdgcn-amd-amdhsa--gfx906
amdhsa.version:
  - 1
  - 2
...

	.end_amdgpu_metadata
